;; amdgpu-corpus repo=ROCm/rocSPARSE kind=compiled arch=gfx90a opt=O3
	.text
	.amdgcn_target "amdgcn-amd-amdhsa--gfx90a"
	.amdhsa_code_object_version 6
	.section	.text._ZN9rocsparseL14csr2ell_kernelILj512EiiiEEvT2_PKT0_PKT1_PKS1_21rocsparse_index_base_S1_PS1_PS2_SA_,"axG",@progbits,_ZN9rocsparseL14csr2ell_kernelILj512EiiiEEvT2_PKT0_PKT1_PKS1_21rocsparse_index_base_S1_PS1_PS2_SA_,comdat
	.globl	_ZN9rocsparseL14csr2ell_kernelILj512EiiiEEvT2_PKT0_PKT1_PKS1_21rocsparse_index_base_S1_PS1_PS2_SA_ ; -- Begin function _ZN9rocsparseL14csr2ell_kernelILj512EiiiEEvT2_PKT0_PKT1_PKS1_21rocsparse_index_base_S1_PS1_PS2_SA_
	.p2align	8
	.type	_ZN9rocsparseL14csr2ell_kernelILj512EiiiEEvT2_PKT0_PKT1_PKS1_21rocsparse_index_base_S1_PS1_PS2_SA_,@function
_ZN9rocsparseL14csr2ell_kernelILj512EiiiEEvT2_PKT0_PKT1_PKS1_21rocsparse_index_base_S1_PS1_PS2_SA_: ; @_ZN9rocsparseL14csr2ell_kernelILj512EiiiEEvT2_PKT0_PKT1_PKS1_21rocsparse_index_base_S1_PS1_PS2_SA_
; %bb.0:
	s_load_dword s12, s[4:5], 0x0
	s_lshl_b32 s13, s6, 9
	v_or_b32_e32 v2, s13, v0
	s_waitcnt lgkmcnt(0)
	v_cmp_gt_i32_e32 vcc, s12, v2
	s_and_saveexec_b64 s[0:1], vcc
	s_cbranch_execz .LBB0_7
; %bb.1:
	s_load_dwordx4 s[0:3], s[4:5], 0x8
	s_load_dwordx2 s[6:7], s[4:5], 0x20
	v_ashrrev_i32_e32 v3, 31, v2
	v_lshlrev_b64 v[4:5], 2, v[2:3]
	s_load_dwordx4 s[8:11], s[4:5], 0x28
	s_waitcnt lgkmcnt(0)
	v_mov_b32_e32 v1, s3
	v_add_co_u32_e32 v4, vcc, s2, v4
	v_addc_co_u32_e32 v5, vcc, v1, v5, vcc
	global_load_dwordx2 v[6:7], v[4:5], off
	s_cmp_gt_i32 s7, 0
	s_cselect_b64 s[2:3], -1, 0
	s_waitcnt vmcnt(0)
	v_cmp_lt_i32_e32 vcc, v6, v7
	v_subrev_u32_e32 v4, s6, v6
	v_subrev_u32_e32 v1, s6, v7
	s_and_b64 s[14:15], s[2:3], vcc
	s_and_saveexec_b64 s[2:3], s[14:15]
	s_cbranch_execz .LBB0_4
; %bb.2:
	s_load_dword s16, s[4:5], 0x38
	s_load_dwordx2 s[14:15], s[4:5], 0x18
	v_ashrrev_i32_e32 v5, 31, v4
	v_lshlrev_b64 v[8:9], 2, v[4:5]
	s_mov_b64 s[4:5], 0
	s_waitcnt lgkmcnt(0)
	s_sub_i32 s6, s16, s6
	v_mov_b32_e32 v3, s15
	v_add_co_u32_e32 v6, vcc, s14, v8
	v_addc_co_u32_e32 v7, vcc, v3, v9, vcc
	v_mov_b32_e32 v3, s1
	v_add_co_u32_e32 v8, vcc, s0, v8
	v_addc_co_u32_e32 v9, vcc, v3, v9, vcc
	s_mov_b32 s14, 1
	v_mov_b32_e32 v5, s9
	v_mov_b32_e32 v10, s11
.LBB0_3:                                ; =>This Inner Loop Header: Depth=1
	global_load_dword v11, v[6:7], off
	v_ashrrev_i32_e32 v3, 31, v2
	v_lshlrev_b64 v[12:13], 2, v[2:3]
	v_add_co_u32_e32 v14, vcc, s8, v12
	v_addc_co_u32_e32 v15, vcc, v5, v13, vcc
	v_add_co_u32_e32 v6, vcc, 4, v6
	s_cmp_ge_i32 s14, s7
	v_addc_co_u32_e32 v7, vcc, 0, v7, vcc
	v_add_co_u32_e64 v12, s[0:1], s10, v12
	s_cselect_b64 s[16:17], -1, 0
	v_addc_co_u32_e64 v13, s[0:1], v10, v13, s[0:1]
	v_add_u32_e32 v2, s12, v2
	s_waitcnt vmcnt(0)
	v_add_u32_e32 v3, s6, v11
	global_store_dword v[14:15], v3, off
	global_load_dword v3, v[8:9], off
	v_add_u32_e32 v11, s14, v4
	v_cmp_ge_i32_e32 vcc, v11, v1
	s_add_i32 s14, s14, 1
	s_or_b64 s[0:1], vcc, s[16:17]
	s_and_b64 s[0:1], exec, s[0:1]
	v_add_co_u32_e32 v8, vcc, 4, v8
	s_or_b64 s[4:5], s[0:1], s[4:5]
	v_addc_co_u32_e32 v9, vcc, 0, v9, vcc
	s_waitcnt vmcnt(0)
	global_store_dword v[12:13], v3, off
	s_andn2_b64 exec, exec, s[4:5]
	s_cbranch_execnz .LBB0_3
.LBB0_4:
	s_or_b64 exec, exec, s[2:3]
	v_sub_u32_e32 v2, v1, v4
	v_cmp_gt_i32_e32 vcc, s7, v2
	s_and_b64 exec, exec, vcc
	s_cbranch_execz .LBB0_7
; %bb.5:
	v_mul_lo_u32 v1, s12, v2
	v_add3_u32 v0, v0, v1, s13
	s_mov_b64 s[0:1], 0
	v_mov_b32_e32 v3, s9
	v_mov_b32_e32 v4, -1
	v_mov_b32_e32 v5, s11
	v_mov_b32_e32 v6, 0
.LBB0_6:                                ; =>This Inner Loop Header: Depth=1
	v_ashrrev_i32_e32 v1, 31, v0
	v_lshlrev_b64 v[8:9], 2, v[0:1]
	v_add_co_u32_e32 v10, vcc, s8, v8
	v_addc_co_u32_e32 v11, vcc, v3, v9, vcc
	v_add_co_u32_e32 v8, vcc, s10, v8
	v_addc_co_u32_e32 v9, vcc, v5, v9, vcc
	v_add_u32_e32 v2, 1, v2
	v_cmp_le_i32_e32 vcc, s7, v2
	s_or_b64 s[0:1], vcc, s[0:1]
	v_add_u32_e32 v0, s12, v0
	global_store_dword v[10:11], v4, off
	global_store_dword v[8:9], v6, off
	s_andn2_b64 exec, exec, s[0:1]
	s_cbranch_execnz .LBB0_6
.LBB0_7:
	s_endpgm
	.section	.rodata,"a",@progbits
	.p2align	6, 0x0
	.amdhsa_kernel _ZN9rocsparseL14csr2ell_kernelILj512EiiiEEvT2_PKT0_PKT1_PKS1_21rocsparse_index_base_S1_PS1_PS2_SA_
		.amdhsa_group_segment_fixed_size 0
		.amdhsa_private_segment_fixed_size 0
		.amdhsa_kernarg_size 60
		.amdhsa_user_sgpr_count 6
		.amdhsa_user_sgpr_private_segment_buffer 1
		.amdhsa_user_sgpr_dispatch_ptr 0
		.amdhsa_user_sgpr_queue_ptr 0
		.amdhsa_user_sgpr_kernarg_segment_ptr 1
		.amdhsa_user_sgpr_dispatch_id 0
		.amdhsa_user_sgpr_flat_scratch_init 0
		.amdhsa_user_sgpr_kernarg_preload_length 0
		.amdhsa_user_sgpr_kernarg_preload_offset 0
		.amdhsa_user_sgpr_private_segment_size 0
		.amdhsa_uses_dynamic_stack 0
		.amdhsa_system_sgpr_private_segment_wavefront_offset 0
		.amdhsa_system_sgpr_workgroup_id_x 1
		.amdhsa_system_sgpr_workgroup_id_y 0
		.amdhsa_system_sgpr_workgroup_id_z 0
		.amdhsa_system_sgpr_workgroup_info 0
		.amdhsa_system_vgpr_workitem_id 0
		.amdhsa_next_free_vgpr 16
		.amdhsa_next_free_sgpr 18
		.amdhsa_accum_offset 16
		.amdhsa_reserve_vcc 1
		.amdhsa_reserve_flat_scratch 0
		.amdhsa_float_round_mode_32 0
		.amdhsa_float_round_mode_16_64 0
		.amdhsa_float_denorm_mode_32 3
		.amdhsa_float_denorm_mode_16_64 3
		.amdhsa_dx10_clamp 1
		.amdhsa_ieee_mode 1
		.amdhsa_fp16_overflow 0
		.amdhsa_tg_split 0
		.amdhsa_exception_fp_ieee_invalid_op 0
		.amdhsa_exception_fp_denorm_src 0
		.amdhsa_exception_fp_ieee_div_zero 0
		.amdhsa_exception_fp_ieee_overflow 0
		.amdhsa_exception_fp_ieee_underflow 0
		.amdhsa_exception_fp_ieee_inexact 0
		.amdhsa_exception_int_div_zero 0
	.end_amdhsa_kernel
	.section	.text._ZN9rocsparseL14csr2ell_kernelILj512EiiiEEvT2_PKT0_PKT1_PKS1_21rocsparse_index_base_S1_PS1_PS2_SA_,"axG",@progbits,_ZN9rocsparseL14csr2ell_kernelILj512EiiiEEvT2_PKT0_PKT1_PKS1_21rocsparse_index_base_S1_PS1_PS2_SA_,comdat
.Lfunc_end0:
	.size	_ZN9rocsparseL14csr2ell_kernelILj512EiiiEEvT2_PKT0_PKT1_PKS1_21rocsparse_index_base_S1_PS1_PS2_SA_, .Lfunc_end0-_ZN9rocsparseL14csr2ell_kernelILj512EiiiEEvT2_PKT0_PKT1_PKS1_21rocsparse_index_base_S1_PS1_PS2_SA_
                                        ; -- End function
	.section	.AMDGPU.csdata,"",@progbits
; Kernel info:
; codeLenInByte = 472
; NumSgprs: 22
; NumVgprs: 16
; NumAgprs: 0
; TotalNumVgprs: 16
; ScratchSize: 0
; MemoryBound: 0
; FloatMode: 240
; IeeeMode: 1
; LDSByteSize: 0 bytes/workgroup (compile time only)
; SGPRBlocks: 2
; VGPRBlocks: 1
; NumSGPRsForWavesPerEU: 22
; NumVGPRsForWavesPerEU: 16
; AccumOffset: 16
; Occupancy: 8
; WaveLimiterHint : 0
; COMPUTE_PGM_RSRC2:SCRATCH_EN: 0
; COMPUTE_PGM_RSRC2:USER_SGPR: 6
; COMPUTE_PGM_RSRC2:TRAP_HANDLER: 0
; COMPUTE_PGM_RSRC2:TGID_X_EN: 1
; COMPUTE_PGM_RSRC2:TGID_Y_EN: 0
; COMPUTE_PGM_RSRC2:TGID_Z_EN: 0
; COMPUTE_PGM_RSRC2:TIDIG_COMP_CNT: 0
; COMPUTE_PGM_RSRC3_GFX90A:ACCUM_OFFSET: 3
; COMPUTE_PGM_RSRC3_GFX90A:TG_SPLIT: 0
	.section	.text._ZN9rocsparseL14csr2ell_kernelILj512EiliEEvT2_PKT0_PKT1_PKS1_21rocsparse_index_base_S1_PS1_PS2_SA_,"axG",@progbits,_ZN9rocsparseL14csr2ell_kernelILj512EiliEEvT2_PKT0_PKT1_PKS1_21rocsparse_index_base_S1_PS1_PS2_SA_,comdat
	.globl	_ZN9rocsparseL14csr2ell_kernelILj512EiliEEvT2_PKT0_PKT1_PKS1_21rocsparse_index_base_S1_PS1_PS2_SA_ ; -- Begin function _ZN9rocsparseL14csr2ell_kernelILj512EiliEEvT2_PKT0_PKT1_PKS1_21rocsparse_index_base_S1_PS1_PS2_SA_
	.p2align	8
	.type	_ZN9rocsparseL14csr2ell_kernelILj512EiliEEvT2_PKT0_PKT1_PKS1_21rocsparse_index_base_S1_PS1_PS2_SA_,@function
_ZN9rocsparseL14csr2ell_kernelILj512EiliEEvT2_PKT0_PKT1_PKS1_21rocsparse_index_base_S1_PS1_PS2_SA_: ; @_ZN9rocsparseL14csr2ell_kernelILj512EiliEEvT2_PKT0_PKT1_PKS1_21rocsparse_index_base_S1_PS1_PS2_SA_
; %bb.0:
	s_load_dword s16, s[4:5], 0x0
	s_lshl_b32 s17, s6, 9
	v_or_b32_e32 v6, s17, v0
	s_waitcnt lgkmcnt(0)
	v_cmp_gt_i32_e32 vcc, s16, v6
	s_and_saveexec_b64 s[0:1], vcc
	s_cbranch_execz .LBB1_7
; %bb.1:
	s_load_dwordx4 s[8:11], s[4:5], 0x8
	s_load_dwordx2 s[6:7], s[4:5], 0x20
	v_ashrrev_i32_e32 v7, 31, v6
	v_lshlrev_b64 v[2:3], 3, v[6:7]
	s_load_dwordx4 s[0:3], s[4:5], 0x28
	s_waitcnt lgkmcnt(0)
	v_mov_b32_e32 v1, s11
	v_add_co_u32_e32 v2, vcc, s10, v2
	v_addc_co_u32_e32 v3, vcc, v1, v3, vcc
	global_load_dwordx4 v[2:5], v[2:3], off
	s_cmp_gt_i32 s7, 0
	s_cselect_b64 s[10:11], -1, 0
	s_waitcnt vmcnt(0)
	v_subrev_co_u32_e32 v8, vcc, s6, v2
	v_subrev_co_u32_e32 v4, vcc, s6, v4
	v_subbrev_co_u32_e32 v5, vcc, 0, v5, vcc
	v_ashrrev_i32_e32 v9, 31, v8
	v_cmp_gt_i64_e32 vcc, v[4:5], v[8:9]
	s_and_b64 s[12:13], s[10:11], vcc
	s_and_saveexec_b64 s[10:11], s[12:13]
	s_cbranch_execz .LBB1_4
; %bb.2:
	s_load_dword s14, s[4:5], 0x38
	s_load_dwordx2 s[12:13], s[4:5], 0x18
	v_subrev_u32_e32 v1, s6, v2
	v_add_u32_e32 v2, 1, v1
	v_ashrrev_i32_e32 v1, 31, v2
	s_waitcnt lgkmcnt(0)
	s_sub_i32 s6, s14, s6
	s_mov_b64 s[4:5], 0
	v_mov_b32_e32 v3, s13
	v_mov_b32_e32 v12, s1
	;; [unrolled: 1-line block ×4, first 2 shown]
	s_mov_b64 s[14:15], 0
	v_pk_mov_b32 v[10:11], v[8:9], v[8:9] op_sel:[0,1]
	v_mov_b32_e32 v9, v8
.LBB1_3:                                ; =>This Inner Loop Header: Depth=1
	v_lshlrev_b64 v[10:11], 2, v[10:11]
	v_add_co_u32_e32 v16, vcc, s12, v10
	v_addc_co_u32_e32 v17, vcc, v3, v11, vcc
	global_load_dword v15, v[16:17], off
	v_ashrrev_i32_e32 v7, 31, v6
	v_add_co_u32_e32 v10, vcc, s8, v10
	v_lshlrev_b64 v[16:17], 2, v[6:7]
	v_addc_co_u32_e32 v11, vcc, v13, v11, vcc
	v_add_co_u32_e32 v18, vcc, s0, v16
	v_addc_co_u32_e32 v19, vcc, v12, v17, vcc
	s_add_u32 s18, s14, 1
	s_addc_u32 s19, s15, 0
	s_cmp_ge_i32 s18, s7
	v_add_u32_e32 v6, s16, v6
	s_waitcnt vmcnt(0)
	v_add_u32_e32 v7, s6, v15
	global_store_dword v[18:19], v7, off
	global_load_dword v7, v[10:11], off
	v_add_u32_e32 v10, 1, v9
	v_mov_b32_e32 v9, s15
	v_add_co_u32_e32 v18, vcc, s14, v2
	v_addc_co_u32_e32 v19, vcc, v1, v9, vcc
	v_add_co_u32_e32 v16, vcc, s2, v16
	v_addc_co_u32_e32 v17, vcc, v14, v17, vcc
	v_cmp_le_i64_e32 vcc, v[4:5], v[18:19]
	s_mov_b64 s[14:15], s[18:19]
	s_cselect_b64 s[18:19], -1, 0
	s_or_b64 s[18:19], vcc, s[18:19]
	s_and_b64 s[18:19], exec, s[18:19]
	v_ashrrev_i32_e32 v11, 31, v10
	v_mov_b32_e32 v9, v10
	s_or_b64 s[4:5], s[18:19], s[4:5]
	s_waitcnt vmcnt(0)
	global_store_dword v[16:17], v7, off
	s_andn2_b64 exec, exec, s[4:5]
	s_cbranch_execnz .LBB1_3
.LBB1_4:
	s_or_b64 exec, exec, s[10:11]
	v_sub_u32_e32 v2, v4, v8
	v_cmp_gt_i32_e32 vcc, s7, v2
	s_and_b64 exec, exec, vcc
	s_cbranch_execz .LBB1_7
; %bb.5:
	v_mul_lo_u32 v1, s16, v2
	v_add3_u32 v0, v0, v1, s17
	s_mov_b64 s[4:5], 0
	v_mov_b32_e32 v3, s1
	v_mov_b32_e32 v4, -1
	v_mov_b32_e32 v5, s3
	v_mov_b32_e32 v6, 0
.LBB1_6:                                ; =>This Inner Loop Header: Depth=1
	v_ashrrev_i32_e32 v1, 31, v0
	v_lshlrev_b64 v[8:9], 2, v[0:1]
	v_add_co_u32_e32 v10, vcc, s0, v8
	v_addc_co_u32_e32 v11, vcc, v3, v9, vcc
	v_add_co_u32_e32 v8, vcc, s2, v8
	v_addc_co_u32_e32 v9, vcc, v5, v9, vcc
	v_add_u32_e32 v2, 1, v2
	v_cmp_le_i32_e32 vcc, s7, v2
	s_or_b64 s[4:5], vcc, s[4:5]
	v_add_u32_e32 v0, s16, v0
	global_store_dword v[10:11], v4, off
	global_store_dword v[8:9], v6, off
	s_andn2_b64 exec, exec, s[4:5]
	s_cbranch_execnz .LBB1_6
.LBB1_7:
	s_endpgm
	.section	.rodata,"a",@progbits
	.p2align	6, 0x0
	.amdhsa_kernel _ZN9rocsparseL14csr2ell_kernelILj512EiliEEvT2_PKT0_PKT1_PKS1_21rocsparse_index_base_S1_PS1_PS2_SA_
		.amdhsa_group_segment_fixed_size 0
		.amdhsa_private_segment_fixed_size 0
		.amdhsa_kernarg_size 60
		.amdhsa_user_sgpr_count 6
		.amdhsa_user_sgpr_private_segment_buffer 1
		.amdhsa_user_sgpr_dispatch_ptr 0
		.amdhsa_user_sgpr_queue_ptr 0
		.amdhsa_user_sgpr_kernarg_segment_ptr 1
		.amdhsa_user_sgpr_dispatch_id 0
		.amdhsa_user_sgpr_flat_scratch_init 0
		.amdhsa_user_sgpr_kernarg_preload_length 0
		.amdhsa_user_sgpr_kernarg_preload_offset 0
		.amdhsa_user_sgpr_private_segment_size 0
		.amdhsa_uses_dynamic_stack 0
		.amdhsa_system_sgpr_private_segment_wavefront_offset 0
		.amdhsa_system_sgpr_workgroup_id_x 1
		.amdhsa_system_sgpr_workgroup_id_y 0
		.amdhsa_system_sgpr_workgroup_id_z 0
		.amdhsa_system_sgpr_workgroup_info 0
		.amdhsa_system_vgpr_workitem_id 0
		.amdhsa_next_free_vgpr 20
		.amdhsa_next_free_sgpr 20
		.amdhsa_accum_offset 20
		.amdhsa_reserve_vcc 1
		.amdhsa_reserve_flat_scratch 0
		.amdhsa_float_round_mode_32 0
		.amdhsa_float_round_mode_16_64 0
		.amdhsa_float_denorm_mode_32 3
		.amdhsa_float_denorm_mode_16_64 3
		.amdhsa_dx10_clamp 1
		.amdhsa_ieee_mode 1
		.amdhsa_fp16_overflow 0
		.amdhsa_tg_split 0
		.amdhsa_exception_fp_ieee_invalid_op 0
		.amdhsa_exception_fp_denorm_src 0
		.amdhsa_exception_fp_ieee_div_zero 0
		.amdhsa_exception_fp_ieee_overflow 0
		.amdhsa_exception_fp_ieee_underflow 0
		.amdhsa_exception_fp_ieee_inexact 0
		.amdhsa_exception_int_div_zero 0
	.end_amdhsa_kernel
	.section	.text._ZN9rocsparseL14csr2ell_kernelILj512EiliEEvT2_PKT0_PKT1_PKS1_21rocsparse_index_base_S1_PS1_PS2_SA_,"axG",@progbits,_ZN9rocsparseL14csr2ell_kernelILj512EiliEEvT2_PKT0_PKT1_PKS1_21rocsparse_index_base_S1_PS1_PS2_SA_,comdat
.Lfunc_end1:
	.size	_ZN9rocsparseL14csr2ell_kernelILj512EiliEEvT2_PKT0_PKT1_PKS1_21rocsparse_index_base_S1_PS1_PS2_SA_, .Lfunc_end1-_ZN9rocsparseL14csr2ell_kernelILj512EiliEEvT2_PKT0_PKT1_PKS1_21rocsparse_index_base_S1_PS1_PS2_SA_
                                        ; -- End function
	.section	.AMDGPU.csdata,"",@progbits
; Kernel info:
; codeLenInByte = 504
; NumSgprs: 24
; NumVgprs: 20
; NumAgprs: 0
; TotalNumVgprs: 20
; ScratchSize: 0
; MemoryBound: 0
; FloatMode: 240
; IeeeMode: 1
; LDSByteSize: 0 bytes/workgroup (compile time only)
; SGPRBlocks: 2
; VGPRBlocks: 2
; NumSGPRsForWavesPerEU: 24
; NumVGPRsForWavesPerEU: 20
; AccumOffset: 20
; Occupancy: 8
; WaveLimiterHint : 0
; COMPUTE_PGM_RSRC2:SCRATCH_EN: 0
; COMPUTE_PGM_RSRC2:USER_SGPR: 6
; COMPUTE_PGM_RSRC2:TRAP_HANDLER: 0
; COMPUTE_PGM_RSRC2:TGID_X_EN: 1
; COMPUTE_PGM_RSRC2:TGID_Y_EN: 0
; COMPUTE_PGM_RSRC2:TGID_Z_EN: 0
; COMPUTE_PGM_RSRC2:TIDIG_COMP_CNT: 0
; COMPUTE_PGM_RSRC3_GFX90A:ACCUM_OFFSET: 4
; COMPUTE_PGM_RSRC3_GFX90A:TG_SPLIT: 0
	.section	.text._ZN9rocsparseL14csr2ell_kernelILj512EiilEEvT2_PKT0_PKT1_PKS1_21rocsparse_index_base_S1_PS1_PS2_SA_,"axG",@progbits,_ZN9rocsparseL14csr2ell_kernelILj512EiilEEvT2_PKT0_PKT1_PKS1_21rocsparse_index_base_S1_PS1_PS2_SA_,comdat
	.globl	_ZN9rocsparseL14csr2ell_kernelILj512EiilEEvT2_PKT0_PKT1_PKS1_21rocsparse_index_base_S1_PS1_PS2_SA_ ; -- Begin function _ZN9rocsparseL14csr2ell_kernelILj512EiilEEvT2_PKT0_PKT1_PKS1_21rocsparse_index_base_S1_PS1_PS2_SA_
	.p2align	8
	.type	_ZN9rocsparseL14csr2ell_kernelILj512EiilEEvT2_PKT0_PKT1_PKS1_21rocsparse_index_base_S1_PS1_PS2_SA_,@function
_ZN9rocsparseL14csr2ell_kernelILj512EiilEEvT2_PKT0_PKT1_PKS1_21rocsparse_index_base_S1_PS1_PS2_SA_: ; @_ZN9rocsparseL14csr2ell_kernelILj512EiilEEvT2_PKT0_PKT1_PKS1_21rocsparse_index_base_S1_PS1_PS2_SA_
; %bb.0:
	s_load_dwordx8 s[8:15], s[4:5], 0x0
	s_lshl_b32 s22, s6, 9
	v_or_b32_e32 v2, s22, v0
	v_mov_b32_e32 v3, 0
	s_waitcnt lgkmcnt(0)
	v_cmp_gt_i64_e32 vcc, s[8:9], v[2:3]
	s_and_saveexec_b64 s[0:1], vcc
	s_cbranch_execz .LBB2_7
; %bb.1:
	v_lshlrev_b64 v[4:5], 2, v[2:3]
	v_mov_b32_e32 v1, s13
	v_add_co_u32_e32 v4, vcc, s12, v4
	v_addc_co_u32_e32 v5, vcc, v1, v5, vcc
	global_load_dwordx2 v[6:7], v[4:5], off
	s_load_dword s0, s[4:5], 0x20
	s_load_dwordx4 s[16:19], s[4:5], 0x28
	s_load_dwordx2 s[6:7], s[4:5], 0x38
	s_mov_b64 s[12:13], 0
	s_waitcnt lgkmcnt(0)
	v_cmp_gt_i64_e64 s[2:3], s[16:17], 0
	s_waitcnt vmcnt(0)
	v_cmp_lt_i32_e32 vcc, v6, v7
	v_subrev_u32_e32 v4, s0, v6
	v_subrev_u32_e32 v1, s0, v7
	s_and_b64 s[2:3], s[2:3], vcc
	s_and_saveexec_b64 s[20:21], s[2:3]
	s_cbranch_execz .LBB2_4
; %bb.2:
	s_load_dword s1, s[4:5], 0x40
	v_ashrrev_i32_e32 v5, 31, v4
	v_lshlrev_b64 v[6:7], 3, v[4:5]
	v_mov_b32_e32 v3, s15
	v_add_co_u32_e32 v6, vcc, s14, v6
	s_waitcnt lgkmcnt(0)
	s_sub_u32 s9, s1, s0
	v_addc_co_u32_e32 v7, vcc, v3, v7, vcc
	v_lshlrev_b64 v[8:9], 2, v[4:5]
	s_subb_u32 s0, 0, 0
	v_mov_b32_e32 v3, s11
	v_add_co_u32_e32 v8, vcc, s10, v8
	v_addc_co_u32_e32 v9, vcc, v3, v9, vcc
	s_mov_b64 s[4:5], 1
	v_mov_b32_e32 v5, s0
	v_mov_b32_e32 v12, s19
	;; [unrolled: 1-line block ×3, first 2 shown]
	v_pk_mov_b32 v[10:11], s[16:17], s[16:17] op_sel:[0,1]
.LBB2_3:                                ; =>This Inner Loop Header: Depth=1
	global_load_dwordx2 v[14:15], v[6:7], off
	global_load_dword v20, v[8:9], off
	v_add_co_u32_e64 v6, s[0:1], 8, v6
	v_addc_co_u32_e64 v7, s[0:1], 0, v7, s[0:1]
	v_add_co_u32_e64 v8, s[0:1], 4, v8
	v_add_u32_e32 v21, s4, v4
	v_addc_co_u32_e64 v9, s[0:1], 0, v9, s[0:1]
	v_ashrrev_i32_e32 v3, 31, v2
	v_cmp_ge_i64_e32 vcc, s[4:5], v[10:11]
	v_cmp_ge_i32_e64 s[0:1], v21, v1
	v_lshlrev_b64 v[16:17], 3, v[2:3]
	s_or_b64 s[0:1], s[0:1], vcc
	v_add_co_u32_e64 v16, s[2:3], s18, v16
	s_add_u32 s4, s4, 1
	v_lshlrev_b64 v[18:19], 2, v[2:3]
	v_addc_co_u32_e64 v17, s[2:3], v12, v17, s[2:3]
	s_addc_u32 s5, s5, 0
	v_add_co_u32_e64 v18, s[2:3], s6, v18
	s_and_b64 s[0:1], exec, s[0:1]
	v_add_u32_e32 v2, s8, v2
	v_addc_co_u32_e64 v19, s[2:3], v13, v19, s[2:3]
	s_or_b64 s[12:13], s[0:1], s[12:13]
	s_waitcnt vmcnt(1)
	v_add_co_u32_e32 v14, vcc, s9, v14
	v_addc_co_u32_e32 v15, vcc, v5, v15, vcc
	s_waitcnt vmcnt(0)
	global_store_dword v[18:19], v20, off
	global_store_dwordx2 v[16:17], v[14:15], off
	s_andn2_b64 exec, exec, s[12:13]
	s_cbranch_execnz .LBB2_3
.LBB2_4:
	s_or_b64 exec, exec, s[20:21]
	v_sub_u32_e32 v2, v1, v4
	v_ashrrev_i32_e32 v3, 31, v2
	v_cmp_gt_i64_e32 vcc, s[16:17], v[2:3]
	s_and_b64 exec, exec, vcc
	s_cbranch_execz .LBB2_7
; %bb.5:
	v_mul_lo_u32 v1, v2, s8
	v_mov_b32_e32 v4, -1
	v_add3_u32 v0, v0, v1, s22
	s_mov_b64 s[0:1], 0
	v_mov_b32_e32 v6, s19
	v_mov_b32_e32 v5, v4
	v_mov_b32_e32 v7, s7
	v_mov_b32_e32 v8, 0
.LBB2_6:                                ; =>This Inner Loop Header: Depth=1
	v_ashrrev_i32_e32 v1, 31, v0
	v_lshlrev_b64 v[10:11], 3, v[0:1]
	v_add_co_u32_e32 v10, vcc, s18, v10
	v_addc_co_u32_e32 v11, vcc, v6, v11, vcc
	global_store_dwordx2 v[10:11], v[4:5], off
	v_lshlrev_b64 v[10:11], 2, v[0:1]
	v_add_co_u32_e32 v10, vcc, s6, v10
	v_addc_co_u32_e32 v11, vcc, v7, v11, vcc
	v_add_co_u32_e32 v2, vcc, 1, v2
	v_addc_co_u32_e32 v3, vcc, 0, v3, vcc
	v_cmp_le_i64_e32 vcc, s[16:17], v[2:3]
	s_or_b64 s[0:1], vcc, s[0:1]
	v_add_u32_e32 v0, s8, v0
	global_store_dword v[10:11], v8, off
	s_andn2_b64 exec, exec, s[0:1]
	s_cbranch_execnz .LBB2_6
.LBB2_7:
	s_endpgm
	.section	.rodata,"a",@progbits
	.p2align	6, 0x0
	.amdhsa_kernel _ZN9rocsparseL14csr2ell_kernelILj512EiilEEvT2_PKT0_PKT1_PKS1_21rocsparse_index_base_S1_PS1_PS2_SA_
		.amdhsa_group_segment_fixed_size 0
		.amdhsa_private_segment_fixed_size 0
		.amdhsa_kernarg_size 68
		.amdhsa_user_sgpr_count 6
		.amdhsa_user_sgpr_private_segment_buffer 1
		.amdhsa_user_sgpr_dispatch_ptr 0
		.amdhsa_user_sgpr_queue_ptr 0
		.amdhsa_user_sgpr_kernarg_segment_ptr 1
		.amdhsa_user_sgpr_dispatch_id 0
		.amdhsa_user_sgpr_flat_scratch_init 0
		.amdhsa_user_sgpr_kernarg_preload_length 0
		.amdhsa_user_sgpr_kernarg_preload_offset 0
		.amdhsa_user_sgpr_private_segment_size 0
		.amdhsa_uses_dynamic_stack 0
		.amdhsa_system_sgpr_private_segment_wavefront_offset 0
		.amdhsa_system_sgpr_workgroup_id_x 1
		.amdhsa_system_sgpr_workgroup_id_y 0
		.amdhsa_system_sgpr_workgroup_id_z 0
		.amdhsa_system_sgpr_workgroup_info 0
		.amdhsa_system_vgpr_workitem_id 0
		.amdhsa_next_free_vgpr 22
		.amdhsa_next_free_sgpr 23
		.amdhsa_accum_offset 24
		.amdhsa_reserve_vcc 1
		.amdhsa_reserve_flat_scratch 0
		.amdhsa_float_round_mode_32 0
		.amdhsa_float_round_mode_16_64 0
		.amdhsa_float_denorm_mode_32 3
		.amdhsa_float_denorm_mode_16_64 3
		.amdhsa_dx10_clamp 1
		.amdhsa_ieee_mode 1
		.amdhsa_fp16_overflow 0
		.amdhsa_tg_split 0
		.amdhsa_exception_fp_ieee_invalid_op 0
		.amdhsa_exception_fp_denorm_src 0
		.amdhsa_exception_fp_ieee_div_zero 0
		.amdhsa_exception_fp_ieee_overflow 0
		.amdhsa_exception_fp_ieee_underflow 0
		.amdhsa_exception_fp_ieee_inexact 0
		.amdhsa_exception_int_div_zero 0
	.end_amdhsa_kernel
	.section	.text._ZN9rocsparseL14csr2ell_kernelILj512EiilEEvT2_PKT0_PKT1_PKS1_21rocsparse_index_base_S1_PS1_PS2_SA_,"axG",@progbits,_ZN9rocsparseL14csr2ell_kernelILj512EiilEEvT2_PKT0_PKT1_PKS1_21rocsparse_index_base_S1_PS1_PS2_SA_,comdat
.Lfunc_end2:
	.size	_ZN9rocsparseL14csr2ell_kernelILj512EiilEEvT2_PKT0_PKT1_PKS1_21rocsparse_index_base_S1_PS1_PS2_SA_, .Lfunc_end2-_ZN9rocsparseL14csr2ell_kernelILj512EiilEEvT2_PKT0_PKT1_PKS1_21rocsparse_index_base_S1_PS1_PS2_SA_
                                        ; -- End function
	.section	.AMDGPU.csdata,"",@progbits
; Kernel info:
; codeLenInByte = 548
; NumSgprs: 27
; NumVgprs: 22
; NumAgprs: 0
; TotalNumVgprs: 22
; ScratchSize: 0
; MemoryBound: 0
; FloatMode: 240
; IeeeMode: 1
; LDSByteSize: 0 bytes/workgroup (compile time only)
; SGPRBlocks: 3
; VGPRBlocks: 2
; NumSGPRsForWavesPerEU: 27
; NumVGPRsForWavesPerEU: 22
; AccumOffset: 24
; Occupancy: 8
; WaveLimiterHint : 0
; COMPUTE_PGM_RSRC2:SCRATCH_EN: 0
; COMPUTE_PGM_RSRC2:USER_SGPR: 6
; COMPUTE_PGM_RSRC2:TRAP_HANDLER: 0
; COMPUTE_PGM_RSRC2:TGID_X_EN: 1
; COMPUTE_PGM_RSRC2:TGID_Y_EN: 0
; COMPUTE_PGM_RSRC2:TGID_Z_EN: 0
; COMPUTE_PGM_RSRC2:TIDIG_COMP_CNT: 0
; COMPUTE_PGM_RSRC3_GFX90A:ACCUM_OFFSET: 5
; COMPUTE_PGM_RSRC3_GFX90A:TG_SPLIT: 0
	.section	.text._ZN9rocsparseL14csr2ell_kernelILj512EillEEvT2_PKT0_PKT1_PKS1_21rocsparse_index_base_S1_PS1_PS2_SA_,"axG",@progbits,_ZN9rocsparseL14csr2ell_kernelILj512EillEEvT2_PKT0_PKT1_PKS1_21rocsparse_index_base_S1_PS1_PS2_SA_,comdat
	.globl	_ZN9rocsparseL14csr2ell_kernelILj512EillEEvT2_PKT0_PKT1_PKS1_21rocsparse_index_base_S1_PS1_PS2_SA_ ; -- Begin function _ZN9rocsparseL14csr2ell_kernelILj512EillEEvT2_PKT0_PKT1_PKS1_21rocsparse_index_base_S1_PS1_PS2_SA_
	.p2align	8
	.type	_ZN9rocsparseL14csr2ell_kernelILj512EillEEvT2_PKT0_PKT1_PKS1_21rocsparse_index_base_S1_PS1_PS2_SA_,@function
_ZN9rocsparseL14csr2ell_kernelILj512EillEEvT2_PKT0_PKT1_PKS1_21rocsparse_index_base_S1_PS1_PS2_SA_: ; @_ZN9rocsparseL14csr2ell_kernelILj512EillEEvT2_PKT0_PKT1_PKS1_21rocsparse_index_base_S1_PS1_PS2_SA_
; %bb.0:
	s_load_dwordx8 s[8:15], s[4:5], 0x0
	v_lshl_or_b32 v4, s6, 9, v0
	v_mov_b32_e32 v5, 0
	s_waitcnt lgkmcnt(0)
	v_cmp_gt_i64_e32 vcc, s[8:9], v[4:5]
	s_and_saveexec_b64 s[0:1], vcc
	s_cbranch_execz .LBB3_7
; %bb.1:
	v_lshlrev_b64 v[6:7], 3, v[4:5]
	v_mov_b32_e32 v1, s13
	v_add_co_u32_e32 v0, vcc, s12, v6
	v_addc_co_u32_e32 v1, vcc, v1, v7, vcc
	global_load_dwordx4 v[0:3], v[0:1], off
	s_load_dword s0, s[4:5], 0x20
	s_load_dwordx4 s[16:19], s[4:5], 0x28
	s_load_dwordx2 s[6:7], s[4:5], 0x38
	s_mov_b64 s[12:13], 0
	s_waitcnt lgkmcnt(0)
	v_cmp_gt_i64_e64 s[2:3], s[16:17], 0
	s_waitcnt vmcnt(0)
	v_subrev_co_u32_e32 v8, vcc, s0, v0
	v_subbrev_co_u32_e32 v16, vcc, 0, v1, vcc
	v_subrev_co_u32_e32 v2, vcc, s0, v2
	v_subbrev_co_u32_e32 v3, vcc, 0, v3, vcc
	v_ashrrev_i32_e32 v9, 31, v8
	v_cmp_gt_i64_e32 vcc, v[2:3], v[8:9]
	s_and_b64 s[2:3], s[2:3], vcc
	s_and_saveexec_b64 s[20:21], s[2:3]
	s_cbranch_execz .LBB3_4
; %bb.2:
	s_load_dword s1, s[4:5], 0x40
	v_subrev_u32_e32 v0, s0, v0
	v_add_u32_e32 v0, 1, v0
	s_mov_b64 s[4:5], 1
	v_ashrrev_i32_e32 v1, 31, v0
	s_waitcnt lgkmcnt(0)
	s_sub_u32 s22, s1, s0
	s_subb_u32 s0, 0, 0
	v_mov_b32_e32 v17, s15
	v_mov_b32_e32 v18, s0
	;; [unrolled: 1-line block ×5, first 2 shown]
	v_pk_mov_b32 v[10:11], s[16:17], s[16:17] op_sel:[0,1]
	v_mov_b32_e32 v12, v4
	v_pk_mov_b32 v[14:15], v[8:9], v[8:9] op_sel:[0,1]
	v_mov_b32_e32 v9, v8
.LBB3_3:                                ; =>This Inner Loop Header: Depth=1
	v_lshlrev_b64 v[22:23], 3, v[14:15]
	v_add_co_u32_e32 v22, vcc, s14, v22
	v_lshlrev_b64 v[14:15], 2, v[14:15]
	v_addc_co_u32_e32 v23, vcc, v17, v23, vcc
	v_add_co_u32_e32 v14, vcc, s10, v14
	v_addc_co_u32_e32 v15, vcc, v20, v15, vcc
	global_load_dwordx2 v[24:25], v[22:23], off
	global_load_dword v30, v[14:15], off
	v_ashrrev_i32_e32 v13, 31, v12
	v_add_u32_e32 v14, 1, v9
	v_mov_b32_e32 v9, s5
	v_add_co_u32_e64 v28, s[0:1], s4, v0
	v_lshlrev_b64 v[22:23], 3, v[12:13]
	v_lshlrev_b64 v[26:27], 2, v[12:13]
	v_addc_co_u32_e64 v13, s[0:1], v1, v9, s[0:1]
	v_add_co_u32_e64 v28, s[0:1], -1, v28
	v_addc_co_u32_e64 v29, s[0:1], -1, v13, s[0:1]
	v_cmp_ge_i64_e32 vcc, s[4:5], v[10:11]
	v_cmp_le_i64_e64 s[0:1], v[2:3], v[28:29]
	s_or_b64 s[0:1], s[0:1], vcc
	v_add_co_u32_e64 v22, s[2:3], s18, v22
	s_add_u32 s4, s4, 1
	v_addc_co_u32_e64 v23, s[2:3], v19, v23, s[2:3]
	s_addc_u32 s5, s5, 0
	v_add_co_u32_e64 v26, s[2:3], s6, v26
	s_and_b64 s[0:1], exec, s[0:1]
	v_ashrrev_i32_e32 v15, 31, v14
	v_add_u32_e32 v12, s8, v12
	v_mov_b32_e32 v9, v14
	v_addc_co_u32_e64 v27, s[2:3], v21, v27, s[2:3]
	s_or_b64 s[12:13], s[0:1], s[12:13]
	s_waitcnt vmcnt(1)
	v_add_co_u32_e32 v24, vcc, s22, v24
	v_addc_co_u32_e32 v25, vcc, v18, v25, vcc
	s_waitcnt vmcnt(0)
	global_store_dword v[26:27], v30, off
	global_store_dwordx2 v[22:23], v[24:25], off
	s_andn2_b64 exec, exec, s[12:13]
	s_cbranch_execnz .LBB3_3
.LBB3_4:
	s_or_b64 exec, exec, s[20:21]
	v_sub_co_u32_e32 v0, vcc, v2, v8
	v_subb_co_u32_e32 v1, vcc, v3, v16, vcc
	v_cmp_gt_i64_e32 vcc, s[16:17], v[0:1]
	s_and_b64 exec, exec, vcc
	s_cbranch_execz .LBB3_7
; %bb.5:
	v_mul_lo_u32 v2, s9, v0
	v_mul_lo_u32 v3, s8, v1
	v_mad_u64_u32 v[8:9], s[0:1], s8, v0, 0
	v_add3_u32 v9, v9, v3, v2
	v_lshlrev_b64 v[2:3], 3, v[8:9]
	v_add_co_u32_e32 v2, vcc, v2, v6
	v_addc_co_u32_e32 v3, vcc, v3, v7, vcc
	v_mov_b32_e32 v6, s19
	v_add_co_u32_e32 v2, vcc, s18, v2
	v_addc_co_u32_e32 v3, vcc, v6, v3, vcc
	v_lshlrev_b64 v[6:7], 2, v[8:9]
	v_lshlrev_b64 v[4:5], 2, v[4:5]
	v_add_co_u32_e32 v4, vcc, v6, v4
	v_addc_co_u32_e32 v5, vcc, v7, v5, vcc
	v_mov_b32_e32 v6, s7
	v_add_co_u32_e32 v4, vcc, s6, v4
	s_lshl_b64 s[2:3], s[8:9], 3
	v_addc_co_u32_e32 v5, vcc, v6, v5, vcc
	s_lshl_b64 s[4:5], s[8:9], 2
	v_mov_b32_e32 v6, -1
	s_mov_b64 s[6:7], 0
	v_mov_b32_e32 v7, v6
	v_mov_b32_e32 v8, 0
	v_mov_b32_e32 v9, s3
	v_mov_b32_e32 v10, s5
.LBB3_6:                                ; =>This Inner Loop Header: Depth=1
	v_add_co_u32_e32 v0, vcc, 1, v0
	v_addc_co_u32_e32 v1, vcc, 0, v1, vcc
	global_store_dwordx2 v[2:3], v[6:7], off
	global_store_dword v[4:5], v8, off
	v_add_co_u32_e32 v2, vcc, s2, v2
	v_addc_co_u32_e32 v3, vcc, v3, v9, vcc
	v_add_co_u32_e32 v4, vcc, s4, v4
	v_cmp_le_i64_e64 s[0:1], s[16:17], v[0:1]
	s_or_b64 s[6:7], s[0:1], s[6:7]
	v_addc_co_u32_e32 v5, vcc, v5, v10, vcc
	s_andn2_b64 exec, exec, s[6:7]
	s_cbranch_execnz .LBB3_6
.LBB3_7:
	s_endpgm
	.section	.rodata,"a",@progbits
	.p2align	6, 0x0
	.amdhsa_kernel _ZN9rocsparseL14csr2ell_kernelILj512EillEEvT2_PKT0_PKT1_PKS1_21rocsparse_index_base_S1_PS1_PS2_SA_
		.amdhsa_group_segment_fixed_size 0
		.amdhsa_private_segment_fixed_size 0
		.amdhsa_kernarg_size 68
		.amdhsa_user_sgpr_count 6
		.amdhsa_user_sgpr_private_segment_buffer 1
		.amdhsa_user_sgpr_dispatch_ptr 0
		.amdhsa_user_sgpr_queue_ptr 0
		.amdhsa_user_sgpr_kernarg_segment_ptr 1
		.amdhsa_user_sgpr_dispatch_id 0
		.amdhsa_user_sgpr_flat_scratch_init 0
		.amdhsa_user_sgpr_kernarg_preload_length 0
		.amdhsa_user_sgpr_kernarg_preload_offset 0
		.amdhsa_user_sgpr_private_segment_size 0
		.amdhsa_uses_dynamic_stack 0
		.amdhsa_system_sgpr_private_segment_wavefront_offset 0
		.amdhsa_system_sgpr_workgroup_id_x 1
		.amdhsa_system_sgpr_workgroup_id_y 0
		.amdhsa_system_sgpr_workgroup_id_z 0
		.amdhsa_system_sgpr_workgroup_info 0
		.amdhsa_system_vgpr_workitem_id 0
		.amdhsa_next_free_vgpr 31
		.amdhsa_next_free_sgpr 23
		.amdhsa_accum_offset 32
		.amdhsa_reserve_vcc 1
		.amdhsa_reserve_flat_scratch 0
		.amdhsa_float_round_mode_32 0
		.amdhsa_float_round_mode_16_64 0
		.amdhsa_float_denorm_mode_32 3
		.amdhsa_float_denorm_mode_16_64 3
		.amdhsa_dx10_clamp 1
		.amdhsa_ieee_mode 1
		.amdhsa_fp16_overflow 0
		.amdhsa_tg_split 0
		.amdhsa_exception_fp_ieee_invalid_op 0
		.amdhsa_exception_fp_denorm_src 0
		.amdhsa_exception_fp_ieee_div_zero 0
		.amdhsa_exception_fp_ieee_overflow 0
		.amdhsa_exception_fp_ieee_underflow 0
		.amdhsa_exception_fp_ieee_inexact 0
		.amdhsa_exception_int_div_zero 0
	.end_amdhsa_kernel
	.section	.text._ZN9rocsparseL14csr2ell_kernelILj512EillEEvT2_PKT0_PKT1_PKS1_21rocsparse_index_base_S1_PS1_PS2_SA_,"axG",@progbits,_ZN9rocsparseL14csr2ell_kernelILj512EillEEvT2_PKT0_PKT1_PKS1_21rocsparse_index_base_S1_PS1_PS2_SA_,comdat
.Lfunc_end3:
	.size	_ZN9rocsparseL14csr2ell_kernelILj512EillEEvT2_PKT0_PKT1_PKS1_21rocsparse_index_base_S1_PS1_PS2_SA_, .Lfunc_end3-_ZN9rocsparseL14csr2ell_kernelILj512EillEEvT2_PKT0_PKT1_PKS1_21rocsparse_index_base_S1_PS1_PS2_SA_
                                        ; -- End function
	.section	.AMDGPU.csdata,"",@progbits
; Kernel info:
; codeLenInByte = 664
; NumSgprs: 27
; NumVgprs: 31
; NumAgprs: 0
; TotalNumVgprs: 31
; ScratchSize: 0
; MemoryBound: 0
; FloatMode: 240
; IeeeMode: 1
; LDSByteSize: 0 bytes/workgroup (compile time only)
; SGPRBlocks: 3
; VGPRBlocks: 3
; NumSGPRsForWavesPerEU: 27
; NumVGPRsForWavesPerEU: 31
; AccumOffset: 32
; Occupancy: 8
; WaveLimiterHint : 0
; COMPUTE_PGM_RSRC2:SCRATCH_EN: 0
; COMPUTE_PGM_RSRC2:USER_SGPR: 6
; COMPUTE_PGM_RSRC2:TRAP_HANDLER: 0
; COMPUTE_PGM_RSRC2:TGID_X_EN: 1
; COMPUTE_PGM_RSRC2:TGID_Y_EN: 0
; COMPUTE_PGM_RSRC2:TGID_Z_EN: 0
; COMPUTE_PGM_RSRC2:TIDIG_COMP_CNT: 0
; COMPUTE_PGM_RSRC3_GFX90A:ACCUM_OFFSET: 7
; COMPUTE_PGM_RSRC3_GFX90A:TG_SPLIT: 0
	.section	.text._ZN9rocsparseL14csr2ell_kernelILj512EfiiEEvT2_PKT0_PKT1_PKS1_21rocsparse_index_base_S1_PS1_PS2_SA_,"axG",@progbits,_ZN9rocsparseL14csr2ell_kernelILj512EfiiEEvT2_PKT0_PKT1_PKS1_21rocsparse_index_base_S1_PS1_PS2_SA_,comdat
	.globl	_ZN9rocsparseL14csr2ell_kernelILj512EfiiEEvT2_PKT0_PKT1_PKS1_21rocsparse_index_base_S1_PS1_PS2_SA_ ; -- Begin function _ZN9rocsparseL14csr2ell_kernelILj512EfiiEEvT2_PKT0_PKT1_PKS1_21rocsparse_index_base_S1_PS1_PS2_SA_
	.p2align	8
	.type	_ZN9rocsparseL14csr2ell_kernelILj512EfiiEEvT2_PKT0_PKT1_PKS1_21rocsparse_index_base_S1_PS1_PS2_SA_,@function
_ZN9rocsparseL14csr2ell_kernelILj512EfiiEEvT2_PKT0_PKT1_PKS1_21rocsparse_index_base_S1_PS1_PS2_SA_: ; @_ZN9rocsparseL14csr2ell_kernelILj512EfiiEEvT2_PKT0_PKT1_PKS1_21rocsparse_index_base_S1_PS1_PS2_SA_
; %bb.0:
	s_load_dword s14, s[4:5], 0x0
	s_lshl_b32 s15, s6, 9
	v_or_b32_e32 v2, s15, v0
	s_waitcnt lgkmcnt(0)
	v_cmp_gt_i32_e32 vcc, s14, v2
	s_and_saveexec_b64 s[0:1], vcc
	s_cbranch_execz .LBB4_14
; %bb.1:
	s_load_dwordx4 s[0:3], s[4:5], 0x8
	s_load_dwordx2 s[6:7], s[4:5], 0x20
	v_ashrrev_i32_e32 v3, 31, v2
	v_lshlrev_b64 v[4:5], 2, v[2:3]
	s_load_dwordx4 s[8:11], s[4:5], 0x28
	s_waitcnt lgkmcnt(0)
	v_mov_b32_e32 v1, s3
	v_add_co_u32_e32 v4, vcc, s2, v4
	v_addc_co_u32_e32 v5, vcc, v1, v5, vcc
	global_load_dwordx2 v[4:5], v[4:5], off
	s_cmp_gt_i32 s7, 0
	s_cselect_b64 s[2:3], -1, 0
	s_waitcnt vmcnt(0)
	v_cmp_lt_i32_e32 vcc, v4, v5
	v_subrev_u32_e32 v6, s6, v4
	v_subrev_u32_e32 v1, s6, v5
	s_and_b64 s[12:13], s[2:3], vcc
	s_and_saveexec_b64 s[2:3], s[12:13]
	s_cbranch_execz .LBB4_4
; %bb.2:
	s_load_dword s16, s[4:5], 0x38
	s_load_dwordx2 s[12:13], s[4:5], 0x18
	v_ashrrev_i32_e32 v7, 31, v6
	v_lshlrev_b64 v[10:11], 2, v[6:7]
	s_mov_b64 s[4:5], 0
	s_waitcnt lgkmcnt(0)
	s_sub_i32 s6, s16, s6
	v_mov_b32_e32 v3, s13
	v_add_co_u32_e32 v8, vcc, s12, v10
	v_addc_co_u32_e32 v9, vcc, v3, v11, vcc
	v_mov_b32_e32 v3, s1
	v_add_co_u32_e32 v10, vcc, s0, v10
	v_addc_co_u32_e32 v11, vcc, v3, v11, vcc
	s_mov_b32 s12, 1
	v_mov_b32_e32 v3, s9
	v_mov_b32_e32 v7, s11
	;; [unrolled: 1-line block ×3, first 2 shown]
.LBB4_3:                                ; =>This Inner Loop Header: Depth=1
	global_load_dword v18, v[8:9], off
	global_load_dword v19, v[10:11], off
	v_add_co_u32_e32 v8, vcc, 4, v8
	v_addc_co_u32_e32 v9, vcc, 0, v9, vcc
	v_ashrrev_i32_e32 v13, 31, v12
	v_add_co_u32_e32 v10, vcc, 4, v10
	v_add_u32_e32 v16, s12, v6
	v_addc_co_u32_e32 v11, vcc, 0, v11, vcc
	v_lshlrev_b64 v[14:15], 2, v[12:13]
	v_cmp_ge_i32_e32 vcc, v16, v1
	v_add_co_u32_e64 v16, s[0:1], s8, v14
	v_addc_co_u32_e64 v17, s[0:1], v3, v15, s[0:1]
	s_cmp_ge_i32 s12, s7
	v_add_co_u32_e64 v14, s[0:1], s10, v14
	s_cselect_b64 s[16:17], -1, 0
	v_addc_co_u32_e64 v15, s[0:1], v7, v15, s[0:1]
	s_add_i32 s12, s12, 1
	s_or_b64 s[0:1], vcc, s[16:17]
	s_and_b64 s[0:1], exec, s[0:1]
	v_add_u32_e32 v12, s14, v12
	s_or_b64 s[4:5], s[0:1], s[4:5]
	s_waitcnt vmcnt(1)
	v_add_u32_e32 v13, s6, v18
	s_waitcnt vmcnt(0)
	global_store_dword v[14:15], v19, off
	global_store_dword v[16:17], v13, off
	s_andn2_b64 exec, exec, s[4:5]
	s_cbranch_execnz .LBB4_3
.LBB4_4:
	s_or_b64 exec, exec, s[2:3]
	v_sub_u32_e32 v8, v1, v6
	v_cmp_gt_i32_e32 vcc, s7, v8
	s_and_b64 exec, exec, vcc
	s_cbranch_execz .LBB4_14
; %bb.5:
	v_add_u32_e32 v3, s7, v4
	v_sub_u32_e32 v1, v3, v5
	v_cmp_gt_u32_e64 s[0:1], 8, v1
	v_cmp_lt_u32_e32 vcc, 7, v1
	s_and_saveexec_b64 s[2:3], vcc
	s_cbranch_execz .LBB4_11
; %bb.6:
	v_add_u32_e32 v2, v2, v5
	v_not_b32_e32 v6, v5
	v_sub_u32_e32 v2, v2, v4
	s_cmp_eq_u32 s14, 1
	v_add3_u32 v3, v3, v6, v2
	s_cselect_b64 s[4:5], -1, 0
	v_cmp_ge_i32_e32 vcc, v3, v2
	s_and_b64 s[16:17], s[4:5], vcc
	s_mov_b64 s[12:13], -1
	s_and_saveexec_b64 s[4:5], s[16:17]
	s_cbranch_execz .LBB4_10
; %bb.7:
	v_and_b32_e32 v9, -2, v1
	v_mov_b32_e32 v4, -1
	v_mov_b32_e32 v6, 0
	s_mov_b64 s[12:13], 0
	v_mov_b32_e32 v10, s9
	v_mov_b32_e32 v5, v4
	;; [unrolled: 1-line block ×5, first 2 shown]
.LBB4_8:                                ; =>This Inner Loop Header: Depth=1
	v_ashrrev_i32_e32 v3, 31, v2
	v_lshlrev_b64 v[14:15], 2, v[2:3]
	v_add_co_u32_e32 v16, vcc, s8, v14
	v_addc_co_u32_e32 v17, vcc, v10, v15, vcc
	v_add_co_u32_e32 v14, vcc, s10, v14
	v_addc_co_u32_e32 v15, vcc, v11, v15, vcc
	v_add_u32_e32 v12, -2, v12
	v_cmp_eq_u32_e32 vcc, 0, v12
	s_or_b64 s[12:13], vcc, s[12:13]
	v_add_u32_e32 v2, 2, v2
	global_store_dwordx2 v[16:17], v[4:5], off
	global_store_dwordx2 v[14:15], v[6:7], off
	s_andn2_b64 exec, exec, s[12:13]
	s_cbranch_execnz .LBB4_8
; %bb.9:
	s_or_b64 exec, exec, s[12:13]
	v_cmp_ne_u32_e32 vcc, v1, v9
	v_add_u32_e32 v8, v8, v9
	s_orn2_b64 s[12:13], vcc, exec
.LBB4_10:
	s_or_b64 exec, exec, s[4:5]
	s_andn2_b64 s[0:1], s[0:1], exec
	s_and_b64 s[4:5], s[12:13], exec
	s_or_b64 s[0:1], s[0:1], s[4:5]
.LBB4_11:
	s_or_b64 exec, exec, s[2:3]
	s_and_b64 exec, exec, s[0:1]
	s_cbranch_execz .LBB4_14
; %bb.12:
	v_mul_lo_u32 v1, v8, s14
	v_add3_u32 v0, v0, v1, s15
	s_mov_b64 s[0:1], 0
	v_mov_b32_e32 v2, s9
	v_mov_b32_e32 v3, -1
	v_mov_b32_e32 v4, s11
	v_mov_b32_e32 v5, 0
.LBB4_13:                               ; =>This Inner Loop Header: Depth=1
	v_ashrrev_i32_e32 v1, 31, v0
	v_lshlrev_b64 v[6:7], 2, v[0:1]
	v_add_co_u32_e32 v10, vcc, s8, v6
	v_addc_co_u32_e32 v11, vcc, v2, v7, vcc
	v_add_co_u32_e32 v6, vcc, s10, v6
	v_addc_co_u32_e32 v7, vcc, v4, v7, vcc
	v_add_u32_e32 v8, 1, v8
	v_cmp_le_i32_e32 vcc, s7, v8
	s_or_b64 s[0:1], vcc, s[0:1]
	v_add_u32_e32 v0, s14, v0
	global_store_dword v[10:11], v3, off
	global_store_dword v[6:7], v5, off
	s_andn2_b64 exec, exec, s[0:1]
	s_cbranch_execnz .LBB4_13
.LBB4_14:
	s_endpgm
	.section	.rodata,"a",@progbits
	.p2align	6, 0x0
	.amdhsa_kernel _ZN9rocsparseL14csr2ell_kernelILj512EfiiEEvT2_PKT0_PKT1_PKS1_21rocsparse_index_base_S1_PS1_PS2_SA_
		.amdhsa_group_segment_fixed_size 0
		.amdhsa_private_segment_fixed_size 0
		.amdhsa_kernarg_size 60
		.amdhsa_user_sgpr_count 6
		.amdhsa_user_sgpr_private_segment_buffer 1
		.amdhsa_user_sgpr_dispatch_ptr 0
		.amdhsa_user_sgpr_queue_ptr 0
		.amdhsa_user_sgpr_kernarg_segment_ptr 1
		.amdhsa_user_sgpr_dispatch_id 0
		.amdhsa_user_sgpr_flat_scratch_init 0
		.amdhsa_user_sgpr_kernarg_preload_length 0
		.amdhsa_user_sgpr_kernarg_preload_offset 0
		.amdhsa_user_sgpr_private_segment_size 0
		.amdhsa_uses_dynamic_stack 0
		.amdhsa_system_sgpr_private_segment_wavefront_offset 0
		.amdhsa_system_sgpr_workgroup_id_x 1
		.amdhsa_system_sgpr_workgroup_id_y 0
		.amdhsa_system_sgpr_workgroup_id_z 0
		.amdhsa_system_sgpr_workgroup_info 0
		.amdhsa_system_vgpr_workitem_id 0
		.amdhsa_next_free_vgpr 20
		.amdhsa_next_free_sgpr 18
		.amdhsa_accum_offset 20
		.amdhsa_reserve_vcc 1
		.amdhsa_reserve_flat_scratch 0
		.amdhsa_float_round_mode_32 0
		.amdhsa_float_round_mode_16_64 0
		.amdhsa_float_denorm_mode_32 3
		.amdhsa_float_denorm_mode_16_64 3
		.amdhsa_dx10_clamp 1
		.amdhsa_ieee_mode 1
		.amdhsa_fp16_overflow 0
		.amdhsa_tg_split 0
		.amdhsa_exception_fp_ieee_invalid_op 0
		.amdhsa_exception_fp_denorm_src 0
		.amdhsa_exception_fp_ieee_div_zero 0
		.amdhsa_exception_fp_ieee_overflow 0
		.amdhsa_exception_fp_ieee_underflow 0
		.amdhsa_exception_fp_ieee_inexact 0
		.amdhsa_exception_int_div_zero 0
	.end_amdhsa_kernel
	.section	.text._ZN9rocsparseL14csr2ell_kernelILj512EfiiEEvT2_PKT0_PKT1_PKS1_21rocsparse_index_base_S1_PS1_PS2_SA_,"axG",@progbits,_ZN9rocsparseL14csr2ell_kernelILj512EfiiEEvT2_PKT0_PKT1_PKS1_21rocsparse_index_base_S1_PS1_PS2_SA_,comdat
.Lfunc_end4:
	.size	_ZN9rocsparseL14csr2ell_kernelILj512EfiiEEvT2_PKT0_PKT1_PKS1_21rocsparse_index_base_S1_PS1_PS2_SA_, .Lfunc_end4-_ZN9rocsparseL14csr2ell_kernelILj512EfiiEEvT2_PKT0_PKT1_PKS1_21rocsparse_index_base_S1_PS1_PS2_SA_
                                        ; -- End function
	.section	.AMDGPU.csdata,"",@progbits
; Kernel info:
; codeLenInByte = 708
; NumSgprs: 22
; NumVgprs: 20
; NumAgprs: 0
; TotalNumVgprs: 20
; ScratchSize: 0
; MemoryBound: 0
; FloatMode: 240
; IeeeMode: 1
; LDSByteSize: 0 bytes/workgroup (compile time only)
; SGPRBlocks: 2
; VGPRBlocks: 2
; NumSGPRsForWavesPerEU: 22
; NumVGPRsForWavesPerEU: 20
; AccumOffset: 20
; Occupancy: 8
; WaveLimiterHint : 0
; COMPUTE_PGM_RSRC2:SCRATCH_EN: 0
; COMPUTE_PGM_RSRC2:USER_SGPR: 6
; COMPUTE_PGM_RSRC2:TRAP_HANDLER: 0
; COMPUTE_PGM_RSRC2:TGID_X_EN: 1
; COMPUTE_PGM_RSRC2:TGID_Y_EN: 0
; COMPUTE_PGM_RSRC2:TGID_Z_EN: 0
; COMPUTE_PGM_RSRC2:TIDIG_COMP_CNT: 0
; COMPUTE_PGM_RSRC3_GFX90A:ACCUM_OFFSET: 4
; COMPUTE_PGM_RSRC3_GFX90A:TG_SPLIT: 0
	.section	.text._ZN9rocsparseL14csr2ell_kernelILj512EfliEEvT2_PKT0_PKT1_PKS1_21rocsparse_index_base_S1_PS1_PS2_SA_,"axG",@progbits,_ZN9rocsparseL14csr2ell_kernelILj512EfliEEvT2_PKT0_PKT1_PKS1_21rocsparse_index_base_S1_PS1_PS2_SA_,comdat
	.globl	_ZN9rocsparseL14csr2ell_kernelILj512EfliEEvT2_PKT0_PKT1_PKS1_21rocsparse_index_base_S1_PS1_PS2_SA_ ; -- Begin function _ZN9rocsparseL14csr2ell_kernelILj512EfliEEvT2_PKT0_PKT1_PKS1_21rocsparse_index_base_S1_PS1_PS2_SA_
	.p2align	8
	.type	_ZN9rocsparseL14csr2ell_kernelILj512EfliEEvT2_PKT0_PKT1_PKS1_21rocsparse_index_base_S1_PS1_PS2_SA_,@function
_ZN9rocsparseL14csr2ell_kernelILj512EfliEEvT2_PKT0_PKT1_PKS1_21rocsparse_index_base_S1_PS1_PS2_SA_: ; @_ZN9rocsparseL14csr2ell_kernelILj512EfliEEvT2_PKT0_PKT1_PKS1_21rocsparse_index_base_S1_PS1_PS2_SA_
; %bb.0:
	s_load_dword s16, s[4:5], 0x0
	s_lshl_b32 s17, s6, 9
	v_or_b32_e32 v6, s17, v0
	s_waitcnt lgkmcnt(0)
	v_cmp_gt_i32_e32 vcc, s16, v6
	s_and_saveexec_b64 s[0:1], vcc
	s_cbranch_execz .LBB5_14
; %bb.1:
	s_load_dwordx4 s[8:11], s[4:5], 0x8
	s_load_dwordx2 s[6:7], s[4:5], 0x20
	v_ashrrev_i32_e32 v7, 31, v6
	v_lshlrev_b64 v[2:3], 3, v[6:7]
	s_load_dwordx4 s[0:3], s[4:5], 0x28
	s_waitcnt lgkmcnt(0)
	v_mov_b32_e32 v1, s11
	v_add_co_u32_e32 v2, vcc, s10, v2
	v_addc_co_u32_e32 v3, vcc, v1, v3, vcc
	global_load_dwordx4 v[2:5], v[2:3], off
	s_cmp_gt_i32 s7, 0
	s_cselect_b64 s[10:11], -1, 0
	s_waitcnt vmcnt(0)
	v_subrev_co_u32_e32 v8, vcc, s6, v2
	v_subrev_co_u32_e32 v10, vcc, s6, v4
	v_subbrev_co_u32_e32 v11, vcc, 0, v5, vcc
	v_ashrrev_i32_e32 v9, 31, v8
	v_cmp_gt_i64_e32 vcc, v[10:11], v[8:9]
	s_and_b64 s[12:13], s[10:11], vcc
	s_and_saveexec_b64 s[10:11], s[12:13]
	s_cbranch_execz .LBB5_4
; %bb.2:
	s_load_dword s14, s[4:5], 0x38
	s_load_dwordx2 s[12:13], s[4:5], 0x18
	v_subrev_u32_e32 v1, s6, v2
	v_add_u32_e32 v12, 1, v1
	v_ashrrev_i32_e32 v1, 31, v12
	s_waitcnt lgkmcnt(0)
	s_sub_i32 s6, s14, s6
	s_mov_b64 s[4:5], 0
	v_mov_b32_e32 v3, s13
	v_mov_b32_e32 v5, s1
	;; [unrolled: 1-line block ×4, first 2 shown]
	s_mov_b64 s[14:15], 0
	v_mov_b32_e32 v14, v6
	v_pk_mov_b32 v[16:17], v[8:9], v[8:9] op_sel:[0,1]
	v_mov_b32_e32 v9, v8
.LBB5_3:                                ; =>This Inner Loop Header: Depth=1
	v_lshlrev_b64 v[16:17], 2, v[16:17]
	v_add_co_u32_e32 v18, vcc, s12, v16
	v_addc_co_u32_e32 v19, vcc, v3, v17, vcc
	v_add_co_u32_e32 v16, vcc, s8, v16
	v_addc_co_u32_e32 v17, vcc, v7, v17, vcc
	global_load_dword v24, v[18:19], off
	global_load_dword v25, v[16:17], off
	v_ashrrev_i32_e32 v15, 31, v14
	v_add_u32_e32 v16, 1, v9
	v_mov_b32_e32 v9, s15
	v_add_co_u32_e32 v18, vcc, s14, v12
	v_lshlrev_b64 v[20:21], 2, v[14:15]
	v_addc_co_u32_e32 v19, vcc, v1, v9, vcc
	v_add_co_u32_e32 v22, vcc, s0, v20
	s_add_u32 s18, s14, 1
	v_addc_co_u32_e32 v23, vcc, v5, v21, vcc
	s_addc_u32 s19, s15, 0
	v_add_co_u32_e32 v20, vcc, s2, v20
	v_addc_co_u32_e32 v21, vcc, v13, v21, vcc
	s_cmp_ge_i32 s18, s7
	v_cmp_le_i64_e32 vcc, v[10:11], v[18:19]
	s_mov_b64 s[14:15], s[18:19]
	s_cselect_b64 s[18:19], -1, 0
	s_or_b64 s[18:19], vcc, s[18:19]
	s_and_b64 s[18:19], exec, s[18:19]
	v_ashrrev_i32_e32 v17, 31, v16
	v_add_u32_e32 v14, s16, v14
	v_mov_b32_e32 v9, v16
	s_or_b64 s[4:5], s[18:19], s[4:5]
	s_waitcnt vmcnt(1)
	v_add_u32_e32 v15, s6, v24
	s_waitcnt vmcnt(0)
	global_store_dword v[20:21], v25, off
	global_store_dword v[22:23], v15, off
	s_andn2_b64 exec, exec, s[4:5]
	s_cbranch_execnz .LBB5_3
.LBB5_4:
	s_or_b64 exec, exec, s[10:11]
	v_sub_u32_e32 v8, v10, v8
	v_cmp_gt_i32_e32 vcc, s7, v8
	s_and_b64 exec, exec, vcc
	s_cbranch_execz .LBB5_14
; %bb.5:
	v_add_u32_e32 v3, s7, v2
	v_sub_u32_e32 v1, v3, v4
	v_cmp_gt_u32_e64 s[4:5], 8, v1
	v_cmp_lt_u32_e32 vcc, 7, v1
	s_and_saveexec_b64 s[8:9], vcc
	s_cbranch_execz .LBB5_11
; %bb.6:
	v_not_b32_e32 v5, v4
	v_add_u32_e32 v4, v6, v4
	v_sub_u32_e32 v2, v4, v2
	s_cmp_eq_u32 s16, 1
	v_add3_u32 v3, v3, v5, v2
	s_cselect_b64 s[10:11], -1, 0
	v_cmp_ge_i32_e32 vcc, v3, v2
	s_and_b64 s[14:15], s[10:11], vcc
	s_mov_b64 s[12:13], -1
	s_and_saveexec_b64 s[10:11], s[14:15]
	s_cbranch_execz .LBB5_10
; %bb.7:
	v_and_b32_e32 v9, -2, v1
	v_mov_b32_e32 v4, -1
	v_mov_b32_e32 v6, 0
	s_mov_b64 s[12:13], 0
	v_mov_b32_e32 v10, s1
	v_mov_b32_e32 v5, v4
	;; [unrolled: 1-line block ×5, first 2 shown]
.LBB5_8:                                ; =>This Inner Loop Header: Depth=1
	v_ashrrev_i32_e32 v3, 31, v2
	v_lshlrev_b64 v[14:15], 2, v[2:3]
	v_add_co_u32_e32 v16, vcc, s0, v14
	v_addc_co_u32_e32 v17, vcc, v10, v15, vcc
	v_add_co_u32_e32 v14, vcc, s2, v14
	v_addc_co_u32_e32 v15, vcc, v11, v15, vcc
	v_add_u32_e32 v12, -2, v12
	v_cmp_eq_u32_e32 vcc, 0, v12
	s_or_b64 s[12:13], vcc, s[12:13]
	v_add_u32_e32 v2, 2, v2
	global_store_dwordx2 v[16:17], v[4:5], off
	global_store_dwordx2 v[14:15], v[6:7], off
	s_andn2_b64 exec, exec, s[12:13]
	s_cbranch_execnz .LBB5_8
; %bb.9:
	s_or_b64 exec, exec, s[12:13]
	v_cmp_ne_u32_e32 vcc, v1, v9
	v_add_u32_e32 v8, v9, v8
	s_orn2_b64 s[12:13], vcc, exec
.LBB5_10:
	s_or_b64 exec, exec, s[10:11]
	s_andn2_b64 s[4:5], s[4:5], exec
	s_and_b64 s[10:11], s[12:13], exec
	s_or_b64 s[4:5], s[4:5], s[10:11]
.LBB5_11:
	s_or_b64 exec, exec, s[8:9]
	s_and_b64 exec, exec, s[4:5]
	s_cbranch_execz .LBB5_14
; %bb.12:
	v_mul_lo_u32 v1, v8, s16
	v_add3_u32 v0, v0, v1, s17
	s_mov_b64 s[4:5], 0
	v_mov_b32_e32 v2, s1
	v_mov_b32_e32 v3, -1
	v_mov_b32_e32 v4, s3
	v_mov_b32_e32 v5, 0
.LBB5_13:                               ; =>This Inner Loop Header: Depth=1
	v_ashrrev_i32_e32 v1, 31, v0
	v_lshlrev_b64 v[6:7], 2, v[0:1]
	v_add_co_u32_e32 v10, vcc, s0, v6
	v_addc_co_u32_e32 v11, vcc, v2, v7, vcc
	v_add_co_u32_e32 v6, vcc, s2, v6
	v_addc_co_u32_e32 v7, vcc, v4, v7, vcc
	v_add_u32_e32 v8, 1, v8
	v_cmp_le_i32_e32 vcc, s7, v8
	s_or_b64 s[4:5], vcc, s[4:5]
	v_add_u32_e32 v0, s16, v0
	global_store_dword v[10:11], v3, off
	global_store_dword v[6:7], v5, off
	s_andn2_b64 exec, exec, s[4:5]
	s_cbranch_execnz .LBB5_13
.LBB5_14:
	s_endpgm
	.section	.rodata,"a",@progbits
	.p2align	6, 0x0
	.amdhsa_kernel _ZN9rocsparseL14csr2ell_kernelILj512EfliEEvT2_PKT0_PKT1_PKS1_21rocsparse_index_base_S1_PS1_PS2_SA_
		.amdhsa_group_segment_fixed_size 0
		.amdhsa_private_segment_fixed_size 0
		.amdhsa_kernarg_size 60
		.amdhsa_user_sgpr_count 6
		.amdhsa_user_sgpr_private_segment_buffer 1
		.amdhsa_user_sgpr_dispatch_ptr 0
		.amdhsa_user_sgpr_queue_ptr 0
		.amdhsa_user_sgpr_kernarg_segment_ptr 1
		.amdhsa_user_sgpr_dispatch_id 0
		.amdhsa_user_sgpr_flat_scratch_init 0
		.amdhsa_user_sgpr_kernarg_preload_length 0
		.amdhsa_user_sgpr_kernarg_preload_offset 0
		.amdhsa_user_sgpr_private_segment_size 0
		.amdhsa_uses_dynamic_stack 0
		.amdhsa_system_sgpr_private_segment_wavefront_offset 0
		.amdhsa_system_sgpr_workgroup_id_x 1
		.amdhsa_system_sgpr_workgroup_id_y 0
		.amdhsa_system_sgpr_workgroup_id_z 0
		.amdhsa_system_sgpr_workgroup_info 0
		.amdhsa_system_vgpr_workitem_id 0
		.amdhsa_next_free_vgpr 26
		.amdhsa_next_free_sgpr 20
		.amdhsa_accum_offset 28
		.amdhsa_reserve_vcc 1
		.amdhsa_reserve_flat_scratch 0
		.amdhsa_float_round_mode_32 0
		.amdhsa_float_round_mode_16_64 0
		.amdhsa_float_denorm_mode_32 3
		.amdhsa_float_denorm_mode_16_64 3
		.amdhsa_dx10_clamp 1
		.amdhsa_ieee_mode 1
		.amdhsa_fp16_overflow 0
		.amdhsa_tg_split 0
		.amdhsa_exception_fp_ieee_invalid_op 0
		.amdhsa_exception_fp_denorm_src 0
		.amdhsa_exception_fp_ieee_div_zero 0
		.amdhsa_exception_fp_ieee_overflow 0
		.amdhsa_exception_fp_ieee_underflow 0
		.amdhsa_exception_fp_ieee_inexact 0
		.amdhsa_exception_int_div_zero 0
	.end_amdhsa_kernel
	.section	.text._ZN9rocsparseL14csr2ell_kernelILj512EfliEEvT2_PKT0_PKT1_PKS1_21rocsparse_index_base_S1_PS1_PS2_SA_,"axG",@progbits,_ZN9rocsparseL14csr2ell_kernelILj512EfliEEvT2_PKT0_PKT1_PKS1_21rocsparse_index_base_S1_PS1_PS2_SA_,comdat
.Lfunc_end5:
	.size	_ZN9rocsparseL14csr2ell_kernelILj512EfliEEvT2_PKT0_PKT1_PKS1_21rocsparse_index_base_S1_PS1_PS2_SA_, .Lfunc_end5-_ZN9rocsparseL14csr2ell_kernelILj512EfliEEvT2_PKT0_PKT1_PKS1_21rocsparse_index_base_S1_PS1_PS2_SA_
                                        ; -- End function
	.section	.AMDGPU.csdata,"",@progbits
; Kernel info:
; codeLenInByte = 732
; NumSgprs: 24
; NumVgprs: 26
; NumAgprs: 0
; TotalNumVgprs: 26
; ScratchSize: 0
; MemoryBound: 0
; FloatMode: 240
; IeeeMode: 1
; LDSByteSize: 0 bytes/workgroup (compile time only)
; SGPRBlocks: 2
; VGPRBlocks: 3
; NumSGPRsForWavesPerEU: 24
; NumVGPRsForWavesPerEU: 26
; AccumOffset: 28
; Occupancy: 8
; WaveLimiterHint : 0
; COMPUTE_PGM_RSRC2:SCRATCH_EN: 0
; COMPUTE_PGM_RSRC2:USER_SGPR: 6
; COMPUTE_PGM_RSRC2:TRAP_HANDLER: 0
; COMPUTE_PGM_RSRC2:TGID_X_EN: 1
; COMPUTE_PGM_RSRC2:TGID_Y_EN: 0
; COMPUTE_PGM_RSRC2:TGID_Z_EN: 0
; COMPUTE_PGM_RSRC2:TIDIG_COMP_CNT: 0
; COMPUTE_PGM_RSRC3_GFX90A:ACCUM_OFFSET: 6
; COMPUTE_PGM_RSRC3_GFX90A:TG_SPLIT: 0
	.section	.text._ZN9rocsparseL14csr2ell_kernelILj512EfilEEvT2_PKT0_PKT1_PKS1_21rocsparse_index_base_S1_PS1_PS2_SA_,"axG",@progbits,_ZN9rocsparseL14csr2ell_kernelILj512EfilEEvT2_PKT0_PKT1_PKS1_21rocsparse_index_base_S1_PS1_PS2_SA_,comdat
	.globl	_ZN9rocsparseL14csr2ell_kernelILj512EfilEEvT2_PKT0_PKT1_PKS1_21rocsparse_index_base_S1_PS1_PS2_SA_ ; -- Begin function _ZN9rocsparseL14csr2ell_kernelILj512EfilEEvT2_PKT0_PKT1_PKS1_21rocsparse_index_base_S1_PS1_PS2_SA_
	.p2align	8
	.type	_ZN9rocsparseL14csr2ell_kernelILj512EfilEEvT2_PKT0_PKT1_PKS1_21rocsparse_index_base_S1_PS1_PS2_SA_,@function
_ZN9rocsparseL14csr2ell_kernelILj512EfilEEvT2_PKT0_PKT1_PKS1_21rocsparse_index_base_S1_PS1_PS2_SA_: ; @_ZN9rocsparseL14csr2ell_kernelILj512EfilEEvT2_PKT0_PKT1_PKS1_21rocsparse_index_base_S1_PS1_PS2_SA_
; %bb.0:
	s_load_dwordx8 s[8:15], s[4:5], 0x0
	s_lshl_b32 s22, s6, 9
	v_or_b32_e32 v2, s22, v0
	v_mov_b32_e32 v3, 0
	s_waitcnt lgkmcnt(0)
	v_cmp_gt_i64_e32 vcc, s[8:9], v[2:3]
	s_and_saveexec_b64 s[0:1], vcc
	s_cbranch_execz .LBB6_7
; %bb.1:
	v_lshlrev_b64 v[4:5], 2, v[2:3]
	v_mov_b32_e32 v1, s13
	v_add_co_u32_e32 v4, vcc, s12, v4
	v_addc_co_u32_e32 v5, vcc, v1, v5, vcc
	global_load_dwordx2 v[6:7], v[4:5], off
	s_load_dword s0, s[4:5], 0x20
	s_load_dwordx4 s[16:19], s[4:5], 0x28
	s_load_dwordx2 s[6:7], s[4:5], 0x38
	s_mov_b64 s[12:13], 0
	s_waitcnt lgkmcnt(0)
	v_cmp_gt_i64_e64 s[2:3], s[16:17], 0
	s_waitcnt vmcnt(0)
	v_cmp_lt_i32_e32 vcc, v6, v7
	v_subrev_u32_e32 v4, s0, v6
	v_subrev_u32_e32 v1, s0, v7
	s_and_b64 s[2:3], s[2:3], vcc
	s_and_saveexec_b64 s[20:21], s[2:3]
	s_cbranch_execz .LBB6_4
; %bb.2:
	s_load_dword s1, s[4:5], 0x40
	v_ashrrev_i32_e32 v5, 31, v4
	v_lshlrev_b64 v[6:7], 3, v[4:5]
	v_mov_b32_e32 v3, s15
	v_add_co_u32_e32 v6, vcc, s14, v6
	s_waitcnt lgkmcnt(0)
	s_sub_u32 s9, s1, s0
	v_addc_co_u32_e32 v7, vcc, v3, v7, vcc
	v_lshlrev_b64 v[8:9], 2, v[4:5]
	s_subb_u32 s0, 0, 0
	v_mov_b32_e32 v3, s11
	v_add_co_u32_e32 v8, vcc, s10, v8
	v_addc_co_u32_e32 v9, vcc, v3, v9, vcc
	s_mov_b64 s[4:5], 1
	v_mov_b32_e32 v5, s0
	v_mov_b32_e32 v12, s19
	;; [unrolled: 1-line block ×3, first 2 shown]
	v_pk_mov_b32 v[10:11], s[16:17], s[16:17] op_sel:[0,1]
.LBB6_3:                                ; =>This Inner Loop Header: Depth=1
	global_load_dwordx2 v[14:15], v[6:7], off
	global_load_dword v20, v[8:9], off
	v_add_co_u32_e64 v6, s[0:1], 8, v6
	v_addc_co_u32_e64 v7, s[0:1], 0, v7, s[0:1]
	v_add_co_u32_e64 v8, s[0:1], 4, v8
	v_add_u32_e32 v21, s4, v4
	v_addc_co_u32_e64 v9, s[0:1], 0, v9, s[0:1]
	v_ashrrev_i32_e32 v3, 31, v2
	v_cmp_ge_i64_e32 vcc, s[4:5], v[10:11]
	v_cmp_ge_i32_e64 s[0:1], v21, v1
	v_lshlrev_b64 v[16:17], 3, v[2:3]
	s_or_b64 s[0:1], s[0:1], vcc
	v_add_co_u32_e64 v16, s[2:3], s18, v16
	s_add_u32 s4, s4, 1
	v_lshlrev_b64 v[18:19], 2, v[2:3]
	v_addc_co_u32_e64 v17, s[2:3], v12, v17, s[2:3]
	s_addc_u32 s5, s5, 0
	v_add_co_u32_e64 v18, s[2:3], s6, v18
	s_and_b64 s[0:1], exec, s[0:1]
	v_add_u32_e32 v2, s8, v2
	v_addc_co_u32_e64 v19, s[2:3], v13, v19, s[2:3]
	s_or_b64 s[12:13], s[0:1], s[12:13]
	s_waitcnt vmcnt(1)
	v_add_co_u32_e32 v14, vcc, s9, v14
	v_addc_co_u32_e32 v15, vcc, v5, v15, vcc
	s_waitcnt vmcnt(0)
	global_store_dword v[18:19], v20, off
	global_store_dwordx2 v[16:17], v[14:15], off
	s_andn2_b64 exec, exec, s[12:13]
	s_cbranch_execnz .LBB6_3
.LBB6_4:
	s_or_b64 exec, exec, s[20:21]
	v_sub_u32_e32 v2, v1, v4
	v_ashrrev_i32_e32 v3, 31, v2
	v_cmp_gt_i64_e32 vcc, s[16:17], v[2:3]
	s_and_b64 exec, exec, vcc
	s_cbranch_execz .LBB6_7
; %bb.5:
	v_mul_lo_u32 v1, v2, s8
	v_mov_b32_e32 v4, -1
	v_add3_u32 v0, v0, v1, s22
	s_mov_b64 s[0:1], 0
	v_mov_b32_e32 v6, s19
	v_mov_b32_e32 v5, v4
	v_mov_b32_e32 v7, s7
	v_mov_b32_e32 v8, 0
.LBB6_6:                                ; =>This Inner Loop Header: Depth=1
	v_ashrrev_i32_e32 v1, 31, v0
	v_lshlrev_b64 v[10:11], 3, v[0:1]
	v_add_co_u32_e32 v10, vcc, s18, v10
	v_addc_co_u32_e32 v11, vcc, v6, v11, vcc
	global_store_dwordx2 v[10:11], v[4:5], off
	v_lshlrev_b64 v[10:11], 2, v[0:1]
	v_add_co_u32_e32 v10, vcc, s6, v10
	v_addc_co_u32_e32 v11, vcc, v7, v11, vcc
	v_add_co_u32_e32 v2, vcc, 1, v2
	v_addc_co_u32_e32 v3, vcc, 0, v3, vcc
	v_cmp_le_i64_e32 vcc, s[16:17], v[2:3]
	s_or_b64 s[0:1], vcc, s[0:1]
	v_add_u32_e32 v0, s8, v0
	global_store_dword v[10:11], v8, off
	s_andn2_b64 exec, exec, s[0:1]
	s_cbranch_execnz .LBB6_6
.LBB6_7:
	s_endpgm
	.section	.rodata,"a",@progbits
	.p2align	6, 0x0
	.amdhsa_kernel _ZN9rocsparseL14csr2ell_kernelILj512EfilEEvT2_PKT0_PKT1_PKS1_21rocsparse_index_base_S1_PS1_PS2_SA_
		.amdhsa_group_segment_fixed_size 0
		.amdhsa_private_segment_fixed_size 0
		.amdhsa_kernarg_size 68
		.amdhsa_user_sgpr_count 6
		.amdhsa_user_sgpr_private_segment_buffer 1
		.amdhsa_user_sgpr_dispatch_ptr 0
		.amdhsa_user_sgpr_queue_ptr 0
		.amdhsa_user_sgpr_kernarg_segment_ptr 1
		.amdhsa_user_sgpr_dispatch_id 0
		.amdhsa_user_sgpr_flat_scratch_init 0
		.amdhsa_user_sgpr_kernarg_preload_length 0
		.amdhsa_user_sgpr_kernarg_preload_offset 0
		.amdhsa_user_sgpr_private_segment_size 0
		.amdhsa_uses_dynamic_stack 0
		.amdhsa_system_sgpr_private_segment_wavefront_offset 0
		.amdhsa_system_sgpr_workgroup_id_x 1
		.amdhsa_system_sgpr_workgroup_id_y 0
		.amdhsa_system_sgpr_workgroup_id_z 0
		.amdhsa_system_sgpr_workgroup_info 0
		.amdhsa_system_vgpr_workitem_id 0
		.amdhsa_next_free_vgpr 22
		.amdhsa_next_free_sgpr 23
		.amdhsa_accum_offset 24
		.amdhsa_reserve_vcc 1
		.amdhsa_reserve_flat_scratch 0
		.amdhsa_float_round_mode_32 0
		.amdhsa_float_round_mode_16_64 0
		.amdhsa_float_denorm_mode_32 3
		.amdhsa_float_denorm_mode_16_64 3
		.amdhsa_dx10_clamp 1
		.amdhsa_ieee_mode 1
		.amdhsa_fp16_overflow 0
		.amdhsa_tg_split 0
		.amdhsa_exception_fp_ieee_invalid_op 0
		.amdhsa_exception_fp_denorm_src 0
		.amdhsa_exception_fp_ieee_div_zero 0
		.amdhsa_exception_fp_ieee_overflow 0
		.amdhsa_exception_fp_ieee_underflow 0
		.amdhsa_exception_fp_ieee_inexact 0
		.amdhsa_exception_int_div_zero 0
	.end_amdhsa_kernel
	.section	.text._ZN9rocsparseL14csr2ell_kernelILj512EfilEEvT2_PKT0_PKT1_PKS1_21rocsparse_index_base_S1_PS1_PS2_SA_,"axG",@progbits,_ZN9rocsparseL14csr2ell_kernelILj512EfilEEvT2_PKT0_PKT1_PKS1_21rocsparse_index_base_S1_PS1_PS2_SA_,comdat
.Lfunc_end6:
	.size	_ZN9rocsparseL14csr2ell_kernelILj512EfilEEvT2_PKT0_PKT1_PKS1_21rocsparse_index_base_S1_PS1_PS2_SA_, .Lfunc_end6-_ZN9rocsparseL14csr2ell_kernelILj512EfilEEvT2_PKT0_PKT1_PKS1_21rocsparse_index_base_S1_PS1_PS2_SA_
                                        ; -- End function
	.section	.AMDGPU.csdata,"",@progbits
; Kernel info:
; codeLenInByte = 548
; NumSgprs: 27
; NumVgprs: 22
; NumAgprs: 0
; TotalNumVgprs: 22
; ScratchSize: 0
; MemoryBound: 0
; FloatMode: 240
; IeeeMode: 1
; LDSByteSize: 0 bytes/workgroup (compile time only)
; SGPRBlocks: 3
; VGPRBlocks: 2
; NumSGPRsForWavesPerEU: 27
; NumVGPRsForWavesPerEU: 22
; AccumOffset: 24
; Occupancy: 8
; WaveLimiterHint : 0
; COMPUTE_PGM_RSRC2:SCRATCH_EN: 0
; COMPUTE_PGM_RSRC2:USER_SGPR: 6
; COMPUTE_PGM_RSRC2:TRAP_HANDLER: 0
; COMPUTE_PGM_RSRC2:TGID_X_EN: 1
; COMPUTE_PGM_RSRC2:TGID_Y_EN: 0
; COMPUTE_PGM_RSRC2:TGID_Z_EN: 0
; COMPUTE_PGM_RSRC2:TIDIG_COMP_CNT: 0
; COMPUTE_PGM_RSRC3_GFX90A:ACCUM_OFFSET: 5
; COMPUTE_PGM_RSRC3_GFX90A:TG_SPLIT: 0
	.section	.text._ZN9rocsparseL14csr2ell_kernelILj512EfllEEvT2_PKT0_PKT1_PKS1_21rocsparse_index_base_S1_PS1_PS2_SA_,"axG",@progbits,_ZN9rocsparseL14csr2ell_kernelILj512EfllEEvT2_PKT0_PKT1_PKS1_21rocsparse_index_base_S1_PS1_PS2_SA_,comdat
	.globl	_ZN9rocsparseL14csr2ell_kernelILj512EfllEEvT2_PKT0_PKT1_PKS1_21rocsparse_index_base_S1_PS1_PS2_SA_ ; -- Begin function _ZN9rocsparseL14csr2ell_kernelILj512EfllEEvT2_PKT0_PKT1_PKS1_21rocsparse_index_base_S1_PS1_PS2_SA_
	.p2align	8
	.type	_ZN9rocsparseL14csr2ell_kernelILj512EfllEEvT2_PKT0_PKT1_PKS1_21rocsparse_index_base_S1_PS1_PS2_SA_,@function
_ZN9rocsparseL14csr2ell_kernelILj512EfllEEvT2_PKT0_PKT1_PKS1_21rocsparse_index_base_S1_PS1_PS2_SA_: ; @_ZN9rocsparseL14csr2ell_kernelILj512EfllEEvT2_PKT0_PKT1_PKS1_21rocsparse_index_base_S1_PS1_PS2_SA_
; %bb.0:
	s_load_dwordx8 s[8:15], s[4:5], 0x0
	v_lshl_or_b32 v4, s6, 9, v0
	v_mov_b32_e32 v5, 0
	s_waitcnt lgkmcnt(0)
	v_cmp_gt_i64_e32 vcc, s[8:9], v[4:5]
	s_and_saveexec_b64 s[0:1], vcc
	s_cbranch_execz .LBB7_7
; %bb.1:
	v_lshlrev_b64 v[6:7], 3, v[4:5]
	v_mov_b32_e32 v1, s13
	v_add_co_u32_e32 v0, vcc, s12, v6
	v_addc_co_u32_e32 v1, vcc, v1, v7, vcc
	global_load_dwordx4 v[0:3], v[0:1], off
	s_load_dword s0, s[4:5], 0x20
	s_load_dwordx4 s[16:19], s[4:5], 0x28
	s_load_dwordx2 s[6:7], s[4:5], 0x38
	s_mov_b64 s[12:13], 0
	s_waitcnt lgkmcnt(0)
	v_cmp_gt_i64_e64 s[2:3], s[16:17], 0
	s_waitcnt vmcnt(0)
	v_subrev_co_u32_e32 v8, vcc, s0, v0
	v_subbrev_co_u32_e32 v16, vcc, 0, v1, vcc
	v_subrev_co_u32_e32 v2, vcc, s0, v2
	v_subbrev_co_u32_e32 v3, vcc, 0, v3, vcc
	v_ashrrev_i32_e32 v9, 31, v8
	v_cmp_gt_i64_e32 vcc, v[2:3], v[8:9]
	s_and_b64 s[2:3], s[2:3], vcc
	s_and_saveexec_b64 s[20:21], s[2:3]
	s_cbranch_execz .LBB7_4
; %bb.2:
	s_load_dword s1, s[4:5], 0x40
	v_subrev_u32_e32 v0, s0, v0
	v_add_u32_e32 v0, 1, v0
	s_mov_b64 s[4:5], 1
	v_ashrrev_i32_e32 v1, 31, v0
	s_waitcnt lgkmcnt(0)
	s_sub_u32 s22, s1, s0
	s_subb_u32 s0, 0, 0
	v_mov_b32_e32 v17, s15
	v_mov_b32_e32 v18, s0
	v_mov_b32_e32 v19, s19
	v_mov_b32_e32 v20, s11
	v_mov_b32_e32 v21, s7
	v_pk_mov_b32 v[10:11], s[16:17], s[16:17] op_sel:[0,1]
	v_mov_b32_e32 v12, v4
	v_pk_mov_b32 v[14:15], v[8:9], v[8:9] op_sel:[0,1]
	v_mov_b32_e32 v9, v8
.LBB7_3:                                ; =>This Inner Loop Header: Depth=1
	v_lshlrev_b64 v[22:23], 3, v[14:15]
	v_add_co_u32_e32 v22, vcc, s14, v22
	v_lshlrev_b64 v[14:15], 2, v[14:15]
	v_addc_co_u32_e32 v23, vcc, v17, v23, vcc
	v_add_co_u32_e32 v14, vcc, s10, v14
	v_addc_co_u32_e32 v15, vcc, v20, v15, vcc
	global_load_dwordx2 v[24:25], v[22:23], off
	global_load_dword v30, v[14:15], off
	v_ashrrev_i32_e32 v13, 31, v12
	v_add_u32_e32 v14, 1, v9
	v_mov_b32_e32 v9, s5
	v_add_co_u32_e64 v28, s[0:1], s4, v0
	v_lshlrev_b64 v[22:23], 3, v[12:13]
	v_lshlrev_b64 v[26:27], 2, v[12:13]
	v_addc_co_u32_e64 v13, s[0:1], v1, v9, s[0:1]
	v_add_co_u32_e64 v28, s[0:1], -1, v28
	v_addc_co_u32_e64 v29, s[0:1], -1, v13, s[0:1]
	v_cmp_ge_i64_e32 vcc, s[4:5], v[10:11]
	v_cmp_le_i64_e64 s[0:1], v[2:3], v[28:29]
	s_or_b64 s[0:1], s[0:1], vcc
	v_add_co_u32_e64 v22, s[2:3], s18, v22
	s_add_u32 s4, s4, 1
	v_addc_co_u32_e64 v23, s[2:3], v19, v23, s[2:3]
	s_addc_u32 s5, s5, 0
	v_add_co_u32_e64 v26, s[2:3], s6, v26
	s_and_b64 s[0:1], exec, s[0:1]
	v_ashrrev_i32_e32 v15, 31, v14
	v_add_u32_e32 v12, s8, v12
	v_mov_b32_e32 v9, v14
	v_addc_co_u32_e64 v27, s[2:3], v21, v27, s[2:3]
	s_or_b64 s[12:13], s[0:1], s[12:13]
	s_waitcnt vmcnt(1)
	v_add_co_u32_e32 v24, vcc, s22, v24
	v_addc_co_u32_e32 v25, vcc, v18, v25, vcc
	s_waitcnt vmcnt(0)
	global_store_dword v[26:27], v30, off
	global_store_dwordx2 v[22:23], v[24:25], off
	s_andn2_b64 exec, exec, s[12:13]
	s_cbranch_execnz .LBB7_3
.LBB7_4:
	s_or_b64 exec, exec, s[20:21]
	v_sub_co_u32_e32 v0, vcc, v2, v8
	v_subb_co_u32_e32 v1, vcc, v3, v16, vcc
	v_cmp_gt_i64_e32 vcc, s[16:17], v[0:1]
	s_and_b64 exec, exec, vcc
	s_cbranch_execz .LBB7_7
; %bb.5:
	v_mul_lo_u32 v2, s9, v0
	v_mul_lo_u32 v3, s8, v1
	v_mad_u64_u32 v[8:9], s[0:1], s8, v0, 0
	v_add3_u32 v9, v9, v3, v2
	v_lshlrev_b64 v[2:3], 3, v[8:9]
	v_add_co_u32_e32 v2, vcc, v2, v6
	v_addc_co_u32_e32 v3, vcc, v3, v7, vcc
	v_mov_b32_e32 v6, s19
	v_add_co_u32_e32 v2, vcc, s18, v2
	v_addc_co_u32_e32 v3, vcc, v6, v3, vcc
	v_lshlrev_b64 v[6:7], 2, v[8:9]
	v_lshlrev_b64 v[4:5], 2, v[4:5]
	v_add_co_u32_e32 v4, vcc, v6, v4
	v_addc_co_u32_e32 v5, vcc, v7, v5, vcc
	v_mov_b32_e32 v6, s7
	v_add_co_u32_e32 v4, vcc, s6, v4
	s_lshl_b64 s[2:3], s[8:9], 3
	v_addc_co_u32_e32 v5, vcc, v6, v5, vcc
	s_lshl_b64 s[4:5], s[8:9], 2
	v_mov_b32_e32 v6, -1
	s_mov_b64 s[6:7], 0
	v_mov_b32_e32 v7, v6
	v_mov_b32_e32 v8, 0
	;; [unrolled: 1-line block ×4, first 2 shown]
.LBB7_6:                                ; =>This Inner Loop Header: Depth=1
	v_add_co_u32_e32 v0, vcc, 1, v0
	v_addc_co_u32_e32 v1, vcc, 0, v1, vcc
	global_store_dwordx2 v[2:3], v[6:7], off
	global_store_dword v[4:5], v8, off
	v_add_co_u32_e32 v2, vcc, s2, v2
	v_addc_co_u32_e32 v3, vcc, v3, v9, vcc
	v_add_co_u32_e32 v4, vcc, s4, v4
	v_cmp_le_i64_e64 s[0:1], s[16:17], v[0:1]
	s_or_b64 s[6:7], s[0:1], s[6:7]
	v_addc_co_u32_e32 v5, vcc, v5, v10, vcc
	s_andn2_b64 exec, exec, s[6:7]
	s_cbranch_execnz .LBB7_6
.LBB7_7:
	s_endpgm
	.section	.rodata,"a",@progbits
	.p2align	6, 0x0
	.amdhsa_kernel _ZN9rocsparseL14csr2ell_kernelILj512EfllEEvT2_PKT0_PKT1_PKS1_21rocsparse_index_base_S1_PS1_PS2_SA_
		.amdhsa_group_segment_fixed_size 0
		.amdhsa_private_segment_fixed_size 0
		.amdhsa_kernarg_size 68
		.amdhsa_user_sgpr_count 6
		.amdhsa_user_sgpr_private_segment_buffer 1
		.amdhsa_user_sgpr_dispatch_ptr 0
		.amdhsa_user_sgpr_queue_ptr 0
		.amdhsa_user_sgpr_kernarg_segment_ptr 1
		.amdhsa_user_sgpr_dispatch_id 0
		.amdhsa_user_sgpr_flat_scratch_init 0
		.amdhsa_user_sgpr_kernarg_preload_length 0
		.amdhsa_user_sgpr_kernarg_preload_offset 0
		.amdhsa_user_sgpr_private_segment_size 0
		.amdhsa_uses_dynamic_stack 0
		.amdhsa_system_sgpr_private_segment_wavefront_offset 0
		.amdhsa_system_sgpr_workgroup_id_x 1
		.amdhsa_system_sgpr_workgroup_id_y 0
		.amdhsa_system_sgpr_workgroup_id_z 0
		.amdhsa_system_sgpr_workgroup_info 0
		.amdhsa_system_vgpr_workitem_id 0
		.amdhsa_next_free_vgpr 31
		.amdhsa_next_free_sgpr 23
		.amdhsa_accum_offset 32
		.amdhsa_reserve_vcc 1
		.amdhsa_reserve_flat_scratch 0
		.amdhsa_float_round_mode_32 0
		.amdhsa_float_round_mode_16_64 0
		.amdhsa_float_denorm_mode_32 3
		.amdhsa_float_denorm_mode_16_64 3
		.amdhsa_dx10_clamp 1
		.amdhsa_ieee_mode 1
		.amdhsa_fp16_overflow 0
		.amdhsa_tg_split 0
		.amdhsa_exception_fp_ieee_invalid_op 0
		.amdhsa_exception_fp_denorm_src 0
		.amdhsa_exception_fp_ieee_div_zero 0
		.amdhsa_exception_fp_ieee_overflow 0
		.amdhsa_exception_fp_ieee_underflow 0
		.amdhsa_exception_fp_ieee_inexact 0
		.amdhsa_exception_int_div_zero 0
	.end_amdhsa_kernel
	.section	.text._ZN9rocsparseL14csr2ell_kernelILj512EfllEEvT2_PKT0_PKT1_PKS1_21rocsparse_index_base_S1_PS1_PS2_SA_,"axG",@progbits,_ZN9rocsparseL14csr2ell_kernelILj512EfllEEvT2_PKT0_PKT1_PKS1_21rocsparse_index_base_S1_PS1_PS2_SA_,comdat
.Lfunc_end7:
	.size	_ZN9rocsparseL14csr2ell_kernelILj512EfllEEvT2_PKT0_PKT1_PKS1_21rocsparse_index_base_S1_PS1_PS2_SA_, .Lfunc_end7-_ZN9rocsparseL14csr2ell_kernelILj512EfllEEvT2_PKT0_PKT1_PKS1_21rocsparse_index_base_S1_PS1_PS2_SA_
                                        ; -- End function
	.section	.AMDGPU.csdata,"",@progbits
; Kernel info:
; codeLenInByte = 664
; NumSgprs: 27
; NumVgprs: 31
; NumAgprs: 0
; TotalNumVgprs: 31
; ScratchSize: 0
; MemoryBound: 0
; FloatMode: 240
; IeeeMode: 1
; LDSByteSize: 0 bytes/workgroup (compile time only)
; SGPRBlocks: 3
; VGPRBlocks: 3
; NumSGPRsForWavesPerEU: 27
; NumVGPRsForWavesPerEU: 31
; AccumOffset: 32
; Occupancy: 8
; WaveLimiterHint : 0
; COMPUTE_PGM_RSRC2:SCRATCH_EN: 0
; COMPUTE_PGM_RSRC2:USER_SGPR: 6
; COMPUTE_PGM_RSRC2:TRAP_HANDLER: 0
; COMPUTE_PGM_RSRC2:TGID_X_EN: 1
; COMPUTE_PGM_RSRC2:TGID_Y_EN: 0
; COMPUTE_PGM_RSRC2:TGID_Z_EN: 0
; COMPUTE_PGM_RSRC2:TIDIG_COMP_CNT: 0
; COMPUTE_PGM_RSRC3_GFX90A:ACCUM_OFFSET: 7
; COMPUTE_PGM_RSRC3_GFX90A:TG_SPLIT: 0
	.section	.text._ZN9rocsparseL14csr2ell_kernelILj512EdiiEEvT2_PKT0_PKT1_PKS1_21rocsparse_index_base_S1_PS1_PS2_SA_,"axG",@progbits,_ZN9rocsparseL14csr2ell_kernelILj512EdiiEEvT2_PKT0_PKT1_PKS1_21rocsparse_index_base_S1_PS1_PS2_SA_,comdat
	.globl	_ZN9rocsparseL14csr2ell_kernelILj512EdiiEEvT2_PKT0_PKT1_PKS1_21rocsparse_index_base_S1_PS1_PS2_SA_ ; -- Begin function _ZN9rocsparseL14csr2ell_kernelILj512EdiiEEvT2_PKT0_PKT1_PKS1_21rocsparse_index_base_S1_PS1_PS2_SA_
	.p2align	8
	.type	_ZN9rocsparseL14csr2ell_kernelILj512EdiiEEvT2_PKT0_PKT1_PKS1_21rocsparse_index_base_S1_PS1_PS2_SA_,@function
_ZN9rocsparseL14csr2ell_kernelILj512EdiiEEvT2_PKT0_PKT1_PKS1_21rocsparse_index_base_S1_PS1_PS2_SA_: ; @_ZN9rocsparseL14csr2ell_kernelILj512EdiiEEvT2_PKT0_PKT1_PKS1_21rocsparse_index_base_S1_PS1_PS2_SA_
; %bb.0:
	s_load_dword s12, s[4:5], 0x0
	s_lshl_b32 s13, s6, 9
	v_or_b32_e32 v2, s13, v0
	s_waitcnt lgkmcnt(0)
	v_cmp_gt_i32_e32 vcc, s12, v2
	s_and_saveexec_b64 s[0:1], vcc
	s_cbranch_execz .LBB8_7
; %bb.1:
	s_load_dwordx4 s[0:3], s[4:5], 0x8
	s_load_dwordx2 s[6:7], s[4:5], 0x20
	v_ashrrev_i32_e32 v3, 31, v2
	v_lshlrev_b64 v[4:5], 2, v[2:3]
	s_load_dwordx4 s[8:11], s[4:5], 0x28
	s_waitcnt lgkmcnt(0)
	v_mov_b32_e32 v1, s3
	v_add_co_u32_e32 v4, vcc, s2, v4
	v_addc_co_u32_e32 v5, vcc, v1, v5, vcc
	global_load_dwordx2 v[6:7], v[4:5], off
	s_cmp_gt_i32 s7, 0
	s_cselect_b64 s[2:3], -1, 0
	s_waitcnt vmcnt(0)
	v_cmp_lt_i32_e32 vcc, v6, v7
	v_subrev_u32_e32 v4, s6, v6
	v_subrev_u32_e32 v1, s6, v7
	s_and_b64 s[14:15], s[2:3], vcc
	s_and_saveexec_b64 s[2:3], s[14:15]
	s_cbranch_execz .LBB8_4
; %bb.2:
	s_load_dword s16, s[4:5], 0x38
	s_load_dwordx2 s[14:15], s[4:5], 0x18
	v_ashrrev_i32_e32 v5, 31, v4
	v_lshlrev_b64 v[6:7], 2, v[4:5]
	v_lshlrev_b64 v[8:9], 3, v[4:5]
	s_waitcnt lgkmcnt(0)
	s_sub_i32 s6, s16, s6
	v_mov_b32_e32 v3, s15
	v_add_co_u32_e32 v6, vcc, s14, v6
	v_addc_co_u32_e32 v7, vcc, v3, v7, vcc
	v_mov_b32_e32 v3, s1
	v_add_co_u32_e32 v8, vcc, s0, v8
	v_addc_co_u32_e32 v9, vcc, v3, v9, vcc
	s_mov_b32 s14, 1
	s_mov_b64 s[4:5], 0
	v_mov_b32_e32 v5, s9
	v_mov_b32_e32 v10, s11
.LBB8_3:                                ; =>This Inner Loop Header: Depth=1
	global_load_dword v11, v[6:7], off
	global_load_dwordx2 v[12:13], v[8:9], off
	v_ashrrev_i32_e32 v3, 31, v2
	v_add_co_u32_e32 v6, vcc, 4, v6
	v_lshlrev_b64 v[14:15], 2, v[2:3]
	v_addc_co_u32_e32 v7, vcc, 0, v7, vcc
	v_add_co_u32_e64 v14, s[0:1], s8, v14
	v_add_co_u32_e32 v8, vcc, 8, v8
	v_lshlrev_b64 v[16:17], 3, v[2:3]
	v_addc_co_u32_e64 v15, s[0:1], v5, v15, s[0:1]
	v_add_u32_e32 v18, s14, v4
	s_cmp_ge_i32 s14, s7
	v_addc_co_u32_e32 v9, vcc, 0, v9, vcc
	v_add_co_u32_e64 v16, s[0:1], s10, v16
	v_cmp_ge_i32_e32 vcc, v18, v1
	s_cselect_b64 s[16:17], -1, 0
	v_addc_co_u32_e64 v17, s[0:1], v10, v17, s[0:1]
	s_add_i32 s14, s14, 1
	s_or_b64 s[0:1], vcc, s[16:17]
	s_and_b64 s[0:1], exec, s[0:1]
	v_add_u32_e32 v2, s12, v2
	s_or_b64 s[4:5], s[0:1], s[4:5]
	s_waitcnt vmcnt(1)
	v_add_u32_e32 v3, s6, v11
	s_waitcnt vmcnt(0)
	global_store_dwordx2 v[16:17], v[12:13], off
	global_store_dword v[14:15], v3, off
	s_andn2_b64 exec, exec, s[4:5]
	s_cbranch_execnz .LBB8_3
.LBB8_4:
	s_or_b64 exec, exec, s[2:3]
	v_sub_u32_e32 v4, v1, v4
	v_cmp_gt_i32_e32 vcc, s7, v4
	s_and_b64 exec, exec, vcc
	s_cbranch_execz .LBB8_7
; %bb.5:
	v_mul_lo_u32 v1, s12, v4
	v_mov_b32_e32 v2, 0
	v_add3_u32 v0, v0, v1, s13
	s_mov_b64 s[0:1], 0
	v_mov_b32_e32 v5, s9
	v_mov_b32_e32 v6, -1
	v_mov_b32_e32 v7, s11
	v_mov_b32_e32 v3, v2
.LBB8_6:                                ; =>This Inner Loop Header: Depth=1
	v_ashrrev_i32_e32 v1, 31, v0
	v_lshlrev_b64 v[8:9], 2, v[0:1]
	v_add_co_u32_e32 v8, vcc, s8, v8
	v_addc_co_u32_e32 v9, vcc, v5, v9, vcc
	global_store_dword v[8:9], v6, off
	v_lshlrev_b64 v[8:9], 3, v[0:1]
	v_add_co_u32_e32 v8, vcc, s10, v8
	v_addc_co_u32_e32 v9, vcc, v7, v9, vcc
	v_add_u32_e32 v4, 1, v4
	v_cmp_le_i32_e32 vcc, s7, v4
	s_or_b64 s[0:1], vcc, s[0:1]
	v_add_u32_e32 v0, s12, v0
	global_store_dwordx2 v[8:9], v[2:3], off
	s_andn2_b64 exec, exec, s[0:1]
	s_cbranch_execnz .LBB8_6
.LBB8_7:
	s_endpgm
	.section	.rodata,"a",@progbits
	.p2align	6, 0x0
	.amdhsa_kernel _ZN9rocsparseL14csr2ell_kernelILj512EdiiEEvT2_PKT0_PKT1_PKS1_21rocsparse_index_base_S1_PS1_PS2_SA_
		.amdhsa_group_segment_fixed_size 0
		.amdhsa_private_segment_fixed_size 0
		.amdhsa_kernarg_size 60
		.amdhsa_user_sgpr_count 6
		.amdhsa_user_sgpr_private_segment_buffer 1
		.amdhsa_user_sgpr_dispatch_ptr 0
		.amdhsa_user_sgpr_queue_ptr 0
		.amdhsa_user_sgpr_kernarg_segment_ptr 1
		.amdhsa_user_sgpr_dispatch_id 0
		.amdhsa_user_sgpr_flat_scratch_init 0
		.amdhsa_user_sgpr_kernarg_preload_length 0
		.amdhsa_user_sgpr_kernarg_preload_offset 0
		.amdhsa_user_sgpr_private_segment_size 0
		.amdhsa_uses_dynamic_stack 0
		.amdhsa_system_sgpr_private_segment_wavefront_offset 0
		.amdhsa_system_sgpr_workgroup_id_x 1
		.amdhsa_system_sgpr_workgroup_id_y 0
		.amdhsa_system_sgpr_workgroup_id_z 0
		.amdhsa_system_sgpr_workgroup_info 0
		.amdhsa_system_vgpr_workitem_id 0
		.amdhsa_next_free_vgpr 19
		.amdhsa_next_free_sgpr 18
		.amdhsa_accum_offset 20
		.amdhsa_reserve_vcc 1
		.amdhsa_reserve_flat_scratch 0
		.amdhsa_float_round_mode_32 0
		.amdhsa_float_round_mode_16_64 0
		.amdhsa_float_denorm_mode_32 3
		.amdhsa_float_denorm_mode_16_64 3
		.amdhsa_dx10_clamp 1
		.amdhsa_ieee_mode 1
		.amdhsa_fp16_overflow 0
		.amdhsa_tg_split 0
		.amdhsa_exception_fp_ieee_invalid_op 0
		.amdhsa_exception_fp_denorm_src 0
		.amdhsa_exception_fp_ieee_div_zero 0
		.amdhsa_exception_fp_ieee_overflow 0
		.amdhsa_exception_fp_ieee_underflow 0
		.amdhsa_exception_fp_ieee_inexact 0
		.amdhsa_exception_int_div_zero 0
	.end_amdhsa_kernel
	.section	.text._ZN9rocsparseL14csr2ell_kernelILj512EdiiEEvT2_PKT0_PKT1_PKS1_21rocsparse_index_base_S1_PS1_PS2_SA_,"axG",@progbits,_ZN9rocsparseL14csr2ell_kernelILj512EdiiEEvT2_PKT0_PKT1_PKS1_21rocsparse_index_base_S1_PS1_PS2_SA_,comdat
.Lfunc_end8:
	.size	_ZN9rocsparseL14csr2ell_kernelILj512EdiiEEvT2_PKT0_PKT1_PKS1_21rocsparse_index_base_S1_PS1_PS2_SA_, .Lfunc_end8-_ZN9rocsparseL14csr2ell_kernelILj512EdiiEEvT2_PKT0_PKT1_PKS1_21rocsparse_index_base_S1_PS1_PS2_SA_
                                        ; -- End function
	.section	.AMDGPU.csdata,"",@progbits
; Kernel info:
; codeLenInByte = 508
; NumSgprs: 22
; NumVgprs: 19
; NumAgprs: 0
; TotalNumVgprs: 19
; ScratchSize: 0
; MemoryBound: 0
; FloatMode: 240
; IeeeMode: 1
; LDSByteSize: 0 bytes/workgroup (compile time only)
; SGPRBlocks: 2
; VGPRBlocks: 2
; NumSGPRsForWavesPerEU: 22
; NumVGPRsForWavesPerEU: 19
; AccumOffset: 20
; Occupancy: 8
; WaveLimiterHint : 0
; COMPUTE_PGM_RSRC2:SCRATCH_EN: 0
; COMPUTE_PGM_RSRC2:USER_SGPR: 6
; COMPUTE_PGM_RSRC2:TRAP_HANDLER: 0
; COMPUTE_PGM_RSRC2:TGID_X_EN: 1
; COMPUTE_PGM_RSRC2:TGID_Y_EN: 0
; COMPUTE_PGM_RSRC2:TGID_Z_EN: 0
; COMPUTE_PGM_RSRC2:TIDIG_COMP_CNT: 0
; COMPUTE_PGM_RSRC3_GFX90A:ACCUM_OFFSET: 4
; COMPUTE_PGM_RSRC3_GFX90A:TG_SPLIT: 0
	.section	.text._ZN9rocsparseL14csr2ell_kernelILj512EdliEEvT2_PKT0_PKT1_PKS1_21rocsparse_index_base_S1_PS1_PS2_SA_,"axG",@progbits,_ZN9rocsparseL14csr2ell_kernelILj512EdliEEvT2_PKT0_PKT1_PKS1_21rocsparse_index_base_S1_PS1_PS2_SA_,comdat
	.globl	_ZN9rocsparseL14csr2ell_kernelILj512EdliEEvT2_PKT0_PKT1_PKS1_21rocsparse_index_base_S1_PS1_PS2_SA_ ; -- Begin function _ZN9rocsparseL14csr2ell_kernelILj512EdliEEvT2_PKT0_PKT1_PKS1_21rocsparse_index_base_S1_PS1_PS2_SA_
	.p2align	8
	.type	_ZN9rocsparseL14csr2ell_kernelILj512EdliEEvT2_PKT0_PKT1_PKS1_21rocsparse_index_base_S1_PS1_PS2_SA_,@function
_ZN9rocsparseL14csr2ell_kernelILj512EdliEEvT2_PKT0_PKT1_PKS1_21rocsparse_index_base_S1_PS1_PS2_SA_: ; @_ZN9rocsparseL14csr2ell_kernelILj512EdliEEvT2_PKT0_PKT1_PKS1_21rocsparse_index_base_S1_PS1_PS2_SA_
; %bb.0:
	s_load_dword s16, s[4:5], 0x0
	s_lshl_b32 s17, s6, 9
	v_or_b32_e32 v6, s17, v0
	s_waitcnt lgkmcnt(0)
	v_cmp_gt_i32_e32 vcc, s16, v6
	s_and_saveexec_b64 s[0:1], vcc
	s_cbranch_execz .LBB9_7
; %bb.1:
	s_load_dwordx4 s[8:11], s[4:5], 0x8
	s_load_dwordx2 s[6:7], s[4:5], 0x20
	v_ashrrev_i32_e32 v7, 31, v6
	v_lshlrev_b64 v[2:3], 3, v[6:7]
	s_load_dwordx4 s[0:3], s[4:5], 0x28
	s_waitcnt lgkmcnt(0)
	v_mov_b32_e32 v1, s11
	v_add_co_u32_e32 v2, vcc, s10, v2
	v_addc_co_u32_e32 v3, vcc, v1, v3, vcc
	global_load_dwordx4 v[2:5], v[2:3], off
	s_cmp_gt_i32 s7, 0
	s_cselect_b64 s[10:11], -1, 0
	s_waitcnt vmcnt(0)
	v_subrev_co_u32_e32 v8, vcc, s6, v2
	v_subrev_co_u32_e32 v4, vcc, s6, v4
	v_subbrev_co_u32_e32 v5, vcc, 0, v5, vcc
	v_ashrrev_i32_e32 v9, 31, v8
	v_cmp_gt_i64_e32 vcc, v[4:5], v[8:9]
	s_and_b64 s[12:13], s[10:11], vcc
	s_and_saveexec_b64 s[10:11], s[12:13]
	s_cbranch_execz .LBB9_4
; %bb.2:
	s_load_dword s14, s[4:5], 0x38
	s_load_dwordx2 s[12:13], s[4:5], 0x18
	v_subrev_u32_e32 v1, s6, v2
	v_add_u32_e32 v2, 1, v1
	v_ashrrev_i32_e32 v1, 31, v2
	s_waitcnt lgkmcnt(0)
	s_sub_i32 s6, s14, s6
	s_mov_b64 s[4:5], 0
	v_mov_b32_e32 v3, s13
	v_mov_b32_e32 v12, s1
	;; [unrolled: 1-line block ×4, first 2 shown]
	s_mov_b64 s[14:15], 0
	v_pk_mov_b32 v[10:11], v[8:9], v[8:9] op_sel:[0,1]
	v_mov_b32_e32 v9, v8
.LBB9_3:                                ; =>This Inner Loop Header: Depth=1
	v_lshlrev_b64 v[16:17], 2, v[10:11]
	v_add_co_u32_e32 v16, vcc, s12, v16
	v_lshlrev_b64 v[10:11], 3, v[10:11]
	v_addc_co_u32_e32 v17, vcc, v3, v17, vcc
	v_add_co_u32_e32 v10, vcc, s8, v10
	v_addc_co_u32_e32 v11, vcc, v13, v11, vcc
	global_load_dword v15, v[16:17], off
	global_load_dwordx2 v[18:19], v[10:11], off
	v_ashrrev_i32_e32 v7, 31, v6
	v_add_u32_e32 v10, 1, v9
	v_mov_b32_e32 v9, s15
	v_add_co_u32_e32 v16, vcc, s14, v2
	v_lshlrev_b64 v[20:21], 2, v[6:7]
	v_addc_co_u32_e32 v17, vcc, v1, v9, vcc
	v_add_co_u32_e32 v20, vcc, s0, v20
	s_add_u32 s18, s14, 1
	v_lshlrev_b64 v[22:23], 3, v[6:7]
	v_addc_co_u32_e32 v21, vcc, v12, v21, vcc
	s_addc_u32 s19, s15, 0
	v_add_co_u32_e32 v22, vcc, s2, v22
	v_addc_co_u32_e32 v23, vcc, v14, v23, vcc
	s_cmp_ge_i32 s18, s7
	v_cmp_le_i64_e32 vcc, v[4:5], v[16:17]
	s_mov_b64 s[14:15], s[18:19]
	s_cselect_b64 s[18:19], -1, 0
	s_or_b64 s[18:19], vcc, s[18:19]
	s_and_b64 s[18:19], exec, s[18:19]
	v_ashrrev_i32_e32 v11, 31, v10
	v_add_u32_e32 v6, s16, v6
	v_mov_b32_e32 v9, v10
	s_or_b64 s[4:5], s[18:19], s[4:5]
	s_waitcnt vmcnt(1)
	v_add_u32_e32 v7, s6, v15
	s_waitcnt vmcnt(0)
	global_store_dwordx2 v[22:23], v[18:19], off
	global_store_dword v[20:21], v7, off
	s_andn2_b64 exec, exec, s[4:5]
	s_cbranch_execnz .LBB9_3
.LBB9_4:
	s_or_b64 exec, exec, s[10:11]
	v_sub_u32_e32 v4, v4, v8
	v_cmp_gt_i32_e32 vcc, s7, v4
	s_and_b64 exec, exec, vcc
	s_cbranch_execz .LBB9_7
; %bb.5:
	v_mul_lo_u32 v1, s16, v4
	v_mov_b32_e32 v2, 0
	v_add3_u32 v0, v0, v1, s17
	s_mov_b64 s[4:5], 0
	v_mov_b32_e32 v5, s1
	v_mov_b32_e32 v6, -1
	v_mov_b32_e32 v7, s3
	v_mov_b32_e32 v3, v2
.LBB9_6:                                ; =>This Inner Loop Header: Depth=1
	v_ashrrev_i32_e32 v1, 31, v0
	v_lshlrev_b64 v[8:9], 2, v[0:1]
	v_add_co_u32_e32 v8, vcc, s0, v8
	v_addc_co_u32_e32 v9, vcc, v5, v9, vcc
	global_store_dword v[8:9], v6, off
	v_lshlrev_b64 v[8:9], 3, v[0:1]
	v_add_co_u32_e32 v8, vcc, s2, v8
	v_addc_co_u32_e32 v9, vcc, v7, v9, vcc
	v_add_u32_e32 v4, 1, v4
	v_cmp_le_i32_e32 vcc, s7, v4
	s_or_b64 s[4:5], vcc, s[4:5]
	v_add_u32_e32 v0, s16, v0
	global_store_dwordx2 v[8:9], v[2:3], off
	s_andn2_b64 exec, exec, s[4:5]
	s_cbranch_execnz .LBB9_6
.LBB9_7:
	s_endpgm
	.section	.rodata,"a",@progbits
	.p2align	6, 0x0
	.amdhsa_kernel _ZN9rocsparseL14csr2ell_kernelILj512EdliEEvT2_PKT0_PKT1_PKS1_21rocsparse_index_base_S1_PS1_PS2_SA_
		.amdhsa_group_segment_fixed_size 0
		.amdhsa_private_segment_fixed_size 0
		.amdhsa_kernarg_size 60
		.amdhsa_user_sgpr_count 6
		.amdhsa_user_sgpr_private_segment_buffer 1
		.amdhsa_user_sgpr_dispatch_ptr 0
		.amdhsa_user_sgpr_queue_ptr 0
		.amdhsa_user_sgpr_kernarg_segment_ptr 1
		.amdhsa_user_sgpr_dispatch_id 0
		.amdhsa_user_sgpr_flat_scratch_init 0
		.amdhsa_user_sgpr_kernarg_preload_length 0
		.amdhsa_user_sgpr_kernarg_preload_offset 0
		.amdhsa_user_sgpr_private_segment_size 0
		.amdhsa_uses_dynamic_stack 0
		.amdhsa_system_sgpr_private_segment_wavefront_offset 0
		.amdhsa_system_sgpr_workgroup_id_x 1
		.amdhsa_system_sgpr_workgroup_id_y 0
		.amdhsa_system_sgpr_workgroup_id_z 0
		.amdhsa_system_sgpr_workgroup_info 0
		.amdhsa_system_vgpr_workitem_id 0
		.amdhsa_next_free_vgpr 24
		.amdhsa_next_free_sgpr 20
		.amdhsa_accum_offset 24
		.amdhsa_reserve_vcc 1
		.amdhsa_reserve_flat_scratch 0
		.amdhsa_float_round_mode_32 0
		.amdhsa_float_round_mode_16_64 0
		.amdhsa_float_denorm_mode_32 3
		.amdhsa_float_denorm_mode_16_64 3
		.amdhsa_dx10_clamp 1
		.amdhsa_ieee_mode 1
		.amdhsa_fp16_overflow 0
		.amdhsa_tg_split 0
		.amdhsa_exception_fp_ieee_invalid_op 0
		.amdhsa_exception_fp_denorm_src 0
		.amdhsa_exception_fp_ieee_div_zero 0
		.amdhsa_exception_fp_ieee_overflow 0
		.amdhsa_exception_fp_ieee_underflow 0
		.amdhsa_exception_fp_ieee_inexact 0
		.amdhsa_exception_int_div_zero 0
	.end_amdhsa_kernel
	.section	.text._ZN9rocsparseL14csr2ell_kernelILj512EdliEEvT2_PKT0_PKT1_PKS1_21rocsparse_index_base_S1_PS1_PS2_SA_,"axG",@progbits,_ZN9rocsparseL14csr2ell_kernelILj512EdliEEvT2_PKT0_PKT1_PKS1_21rocsparse_index_base_S1_PS1_PS2_SA_,comdat
.Lfunc_end9:
	.size	_ZN9rocsparseL14csr2ell_kernelILj512EdliEEvT2_PKT0_PKT1_PKS1_21rocsparse_index_base_S1_PS1_PS2_SA_, .Lfunc_end9-_ZN9rocsparseL14csr2ell_kernelILj512EdliEEvT2_PKT0_PKT1_PKS1_21rocsparse_index_base_S1_PS1_PS2_SA_
                                        ; -- End function
	.section	.AMDGPU.csdata,"",@progbits
; Kernel info:
; codeLenInByte = 532
; NumSgprs: 24
; NumVgprs: 24
; NumAgprs: 0
; TotalNumVgprs: 24
; ScratchSize: 0
; MemoryBound: 0
; FloatMode: 240
; IeeeMode: 1
; LDSByteSize: 0 bytes/workgroup (compile time only)
; SGPRBlocks: 2
; VGPRBlocks: 2
; NumSGPRsForWavesPerEU: 24
; NumVGPRsForWavesPerEU: 24
; AccumOffset: 24
; Occupancy: 8
; WaveLimiterHint : 0
; COMPUTE_PGM_RSRC2:SCRATCH_EN: 0
; COMPUTE_PGM_RSRC2:USER_SGPR: 6
; COMPUTE_PGM_RSRC2:TRAP_HANDLER: 0
; COMPUTE_PGM_RSRC2:TGID_X_EN: 1
; COMPUTE_PGM_RSRC2:TGID_Y_EN: 0
; COMPUTE_PGM_RSRC2:TGID_Z_EN: 0
; COMPUTE_PGM_RSRC2:TIDIG_COMP_CNT: 0
; COMPUTE_PGM_RSRC3_GFX90A:ACCUM_OFFSET: 5
; COMPUTE_PGM_RSRC3_GFX90A:TG_SPLIT: 0
	.section	.text._ZN9rocsparseL14csr2ell_kernelILj512EdilEEvT2_PKT0_PKT1_PKS1_21rocsparse_index_base_S1_PS1_PS2_SA_,"axG",@progbits,_ZN9rocsparseL14csr2ell_kernelILj512EdilEEvT2_PKT0_PKT1_PKS1_21rocsparse_index_base_S1_PS1_PS2_SA_,comdat
	.globl	_ZN9rocsparseL14csr2ell_kernelILj512EdilEEvT2_PKT0_PKT1_PKS1_21rocsparse_index_base_S1_PS1_PS2_SA_ ; -- Begin function _ZN9rocsparseL14csr2ell_kernelILj512EdilEEvT2_PKT0_PKT1_PKS1_21rocsparse_index_base_S1_PS1_PS2_SA_
	.p2align	8
	.type	_ZN9rocsparseL14csr2ell_kernelILj512EdilEEvT2_PKT0_PKT1_PKS1_21rocsparse_index_base_S1_PS1_PS2_SA_,@function
_ZN9rocsparseL14csr2ell_kernelILj512EdilEEvT2_PKT0_PKT1_PKS1_21rocsparse_index_base_S1_PS1_PS2_SA_: ; @_ZN9rocsparseL14csr2ell_kernelILj512EdilEEvT2_PKT0_PKT1_PKS1_21rocsparse_index_base_S1_PS1_PS2_SA_
; %bb.0:
	s_load_dwordx8 s[8:15], s[4:5], 0x0
	s_lshl_b32 s22, s6, 9
	v_or_b32_e32 v2, s22, v0
	v_mov_b32_e32 v3, 0
	s_waitcnt lgkmcnt(0)
	v_cmp_gt_i64_e32 vcc, s[8:9], v[2:3]
	s_and_saveexec_b64 s[0:1], vcc
	s_cbranch_execz .LBB10_7
; %bb.1:
	v_lshlrev_b64 v[4:5], 2, v[2:3]
	v_mov_b32_e32 v1, s13
	v_add_co_u32_e32 v4, vcc, s12, v4
	v_addc_co_u32_e32 v5, vcc, v1, v5, vcc
	global_load_dwordx2 v[6:7], v[4:5], off
	s_load_dword s0, s[4:5], 0x20
	s_load_dwordx4 s[16:19], s[4:5], 0x28
	s_load_dwordx2 s[6:7], s[4:5], 0x38
	s_mov_b64 s[12:13], 0
	s_waitcnt lgkmcnt(0)
	v_cmp_gt_i64_e64 s[2:3], s[16:17], 0
	s_waitcnt vmcnt(0)
	v_cmp_lt_i32_e32 vcc, v6, v7
	v_subrev_u32_e32 v4, s0, v6
	v_subrev_u32_e32 v1, s0, v7
	s_and_b64 s[2:3], s[2:3], vcc
	s_and_saveexec_b64 s[20:21], s[2:3]
	s_cbranch_execz .LBB10_4
; %bb.2:
	s_load_dword s1, s[4:5], 0x40
	v_ashrrev_i32_e32 v5, 31, v4
	v_lshlrev_b64 v[8:9], 3, v[4:5]
	v_mov_b32_e32 v3, s15
	v_add_co_u32_e32 v6, vcc, s14, v8
	s_waitcnt lgkmcnt(0)
	s_sub_u32 s9, s1, s0
	v_addc_co_u32_e32 v7, vcc, v3, v9, vcc
	s_subb_u32 s0, 0, 0
	v_mov_b32_e32 v3, s11
	v_add_co_u32_e32 v8, vcc, s10, v8
	v_addc_co_u32_e32 v9, vcc, v3, v9, vcc
	s_mov_b64 s[4:5], 1
	v_mov_b32_e32 v5, s0
	v_mov_b32_e32 v12, s19
	;; [unrolled: 1-line block ×3, first 2 shown]
	v_pk_mov_b32 v[10:11], s[16:17], s[16:17] op_sel:[0,1]
.LBB10_3:                               ; =>This Inner Loop Header: Depth=1
	global_load_dwordx2 v[14:15], v[6:7], off
	global_load_dwordx2 v[16:17], v[8:9], off
	v_add_co_u32_e64 v6, s[0:1], 8, v6
	v_addc_co_u32_e64 v7, s[0:1], 0, v7, s[0:1]
	v_add_co_u32_e64 v8, s[0:1], 8, v8
	v_add_u32_e32 v20, s4, v4
	v_addc_co_u32_e64 v9, s[0:1], 0, v9, s[0:1]
	v_ashrrev_i32_e32 v3, 31, v2
	v_cmp_ge_i64_e32 vcc, s[4:5], v[10:11]
	v_cmp_ge_i32_e64 s[0:1], v20, v1
	v_lshlrev_b64 v[18:19], 3, v[2:3]
	s_or_b64 s[0:1], s[0:1], vcc
	v_add_co_u32_e64 v20, s[2:3], s18, v18
	s_add_u32 s4, s4, 1
	v_addc_co_u32_e64 v21, s[2:3], v12, v19, s[2:3]
	s_addc_u32 s5, s5, 0
	v_add_co_u32_e64 v18, s[2:3], s6, v18
	s_and_b64 s[0:1], exec, s[0:1]
	v_add_u32_e32 v2, s8, v2
	v_addc_co_u32_e64 v19, s[2:3], v13, v19, s[2:3]
	s_or_b64 s[12:13], s[0:1], s[12:13]
	s_waitcnt vmcnt(1)
	v_add_co_u32_e32 v14, vcc, s9, v14
	v_addc_co_u32_e32 v15, vcc, v5, v15, vcc
	s_waitcnt vmcnt(0)
	global_store_dwordx2 v[18:19], v[16:17], off
	global_store_dwordx2 v[20:21], v[14:15], off
	s_andn2_b64 exec, exec, s[12:13]
	s_cbranch_execnz .LBB10_3
.LBB10_4:
	s_or_b64 exec, exec, s[20:21]
	v_sub_u32_e32 v2, v1, v4
	v_ashrrev_i32_e32 v3, 31, v2
	v_cmp_gt_i64_e32 vcc, s[16:17], v[2:3]
	s_and_b64 exec, exec, vcc
	s_cbranch_execz .LBB10_7
; %bb.5:
	v_mul_lo_u32 v1, v2, s8
	v_mov_b32_e32 v4, -1
	v_mov_b32_e32 v6, 0
	v_add3_u32 v0, v0, v1, s22
	s_mov_b64 s[0:1], 0
	v_mov_b32_e32 v8, s19
	v_mov_b32_e32 v5, v4
	v_mov_b32_e32 v9, s7
	v_mov_b32_e32 v7, v6
.LBB10_6:                               ; =>This Inner Loop Header: Depth=1
	v_ashrrev_i32_e32 v1, 31, v0
	v_lshlrev_b64 v[10:11], 3, v[0:1]
	v_add_co_u32_e32 v12, vcc, s18, v10
	v_addc_co_u32_e32 v13, vcc, v8, v11, vcc
	v_add_co_u32_e32 v10, vcc, s6, v10
	v_addc_co_u32_e32 v11, vcc, v9, v11, vcc
	;; [unrolled: 2-line block ×3, first 2 shown]
	v_cmp_le_i64_e32 vcc, s[16:17], v[2:3]
	s_or_b64 s[0:1], vcc, s[0:1]
	v_add_u32_e32 v0, s8, v0
	global_store_dwordx2 v[12:13], v[4:5], off
	global_store_dwordx2 v[10:11], v[6:7], off
	s_andn2_b64 exec, exec, s[0:1]
	s_cbranch_execnz .LBB10_6
.LBB10_7:
	s_endpgm
	.section	.rodata,"a",@progbits
	.p2align	6, 0x0
	.amdhsa_kernel _ZN9rocsparseL14csr2ell_kernelILj512EdilEEvT2_PKT0_PKT1_PKS1_21rocsparse_index_base_S1_PS1_PS2_SA_
		.amdhsa_group_segment_fixed_size 0
		.amdhsa_private_segment_fixed_size 0
		.amdhsa_kernarg_size 68
		.amdhsa_user_sgpr_count 6
		.amdhsa_user_sgpr_private_segment_buffer 1
		.amdhsa_user_sgpr_dispatch_ptr 0
		.amdhsa_user_sgpr_queue_ptr 0
		.amdhsa_user_sgpr_kernarg_segment_ptr 1
		.amdhsa_user_sgpr_dispatch_id 0
		.amdhsa_user_sgpr_flat_scratch_init 0
		.amdhsa_user_sgpr_kernarg_preload_length 0
		.amdhsa_user_sgpr_kernarg_preload_offset 0
		.amdhsa_user_sgpr_private_segment_size 0
		.amdhsa_uses_dynamic_stack 0
		.amdhsa_system_sgpr_private_segment_wavefront_offset 0
		.amdhsa_system_sgpr_workgroup_id_x 1
		.amdhsa_system_sgpr_workgroup_id_y 0
		.amdhsa_system_sgpr_workgroup_id_z 0
		.amdhsa_system_sgpr_workgroup_info 0
		.amdhsa_system_vgpr_workitem_id 0
		.amdhsa_next_free_vgpr 22
		.amdhsa_next_free_sgpr 23
		.amdhsa_accum_offset 24
		.amdhsa_reserve_vcc 1
		.amdhsa_reserve_flat_scratch 0
		.amdhsa_float_round_mode_32 0
		.amdhsa_float_round_mode_16_64 0
		.amdhsa_float_denorm_mode_32 3
		.amdhsa_float_denorm_mode_16_64 3
		.amdhsa_dx10_clamp 1
		.amdhsa_ieee_mode 1
		.amdhsa_fp16_overflow 0
		.amdhsa_tg_split 0
		.amdhsa_exception_fp_ieee_invalid_op 0
		.amdhsa_exception_fp_denorm_src 0
		.amdhsa_exception_fp_ieee_div_zero 0
		.amdhsa_exception_fp_ieee_overflow 0
		.amdhsa_exception_fp_ieee_underflow 0
		.amdhsa_exception_fp_ieee_inexact 0
		.amdhsa_exception_int_div_zero 0
	.end_amdhsa_kernel
	.section	.text._ZN9rocsparseL14csr2ell_kernelILj512EdilEEvT2_PKT0_PKT1_PKS1_21rocsparse_index_base_S1_PS1_PS2_SA_,"axG",@progbits,_ZN9rocsparseL14csr2ell_kernelILj512EdilEEvT2_PKT0_PKT1_PKS1_21rocsparse_index_base_S1_PS1_PS2_SA_,comdat
.Lfunc_end10:
	.size	_ZN9rocsparseL14csr2ell_kernelILj512EdilEEvT2_PKT0_PKT1_PKS1_21rocsparse_index_base_S1_PS1_PS2_SA_, .Lfunc_end10-_ZN9rocsparseL14csr2ell_kernelILj512EdilEEvT2_PKT0_PKT1_PKS1_21rocsparse_index_base_S1_PS1_PS2_SA_
                                        ; -- End function
	.section	.AMDGPU.csdata,"",@progbits
; Kernel info:
; codeLenInByte = 528
; NumSgprs: 27
; NumVgprs: 22
; NumAgprs: 0
; TotalNumVgprs: 22
; ScratchSize: 0
; MemoryBound: 0
; FloatMode: 240
; IeeeMode: 1
; LDSByteSize: 0 bytes/workgroup (compile time only)
; SGPRBlocks: 3
; VGPRBlocks: 2
; NumSGPRsForWavesPerEU: 27
; NumVGPRsForWavesPerEU: 22
; AccumOffset: 24
; Occupancy: 8
; WaveLimiterHint : 0
; COMPUTE_PGM_RSRC2:SCRATCH_EN: 0
; COMPUTE_PGM_RSRC2:USER_SGPR: 6
; COMPUTE_PGM_RSRC2:TRAP_HANDLER: 0
; COMPUTE_PGM_RSRC2:TGID_X_EN: 1
; COMPUTE_PGM_RSRC2:TGID_Y_EN: 0
; COMPUTE_PGM_RSRC2:TGID_Z_EN: 0
; COMPUTE_PGM_RSRC2:TIDIG_COMP_CNT: 0
; COMPUTE_PGM_RSRC3_GFX90A:ACCUM_OFFSET: 5
; COMPUTE_PGM_RSRC3_GFX90A:TG_SPLIT: 0
	.section	.text._ZN9rocsparseL14csr2ell_kernelILj512EdllEEvT2_PKT0_PKT1_PKS1_21rocsparse_index_base_S1_PS1_PS2_SA_,"axG",@progbits,_ZN9rocsparseL14csr2ell_kernelILj512EdllEEvT2_PKT0_PKT1_PKS1_21rocsparse_index_base_S1_PS1_PS2_SA_,comdat
	.globl	_ZN9rocsparseL14csr2ell_kernelILj512EdllEEvT2_PKT0_PKT1_PKS1_21rocsparse_index_base_S1_PS1_PS2_SA_ ; -- Begin function _ZN9rocsparseL14csr2ell_kernelILj512EdllEEvT2_PKT0_PKT1_PKS1_21rocsparse_index_base_S1_PS1_PS2_SA_
	.p2align	8
	.type	_ZN9rocsparseL14csr2ell_kernelILj512EdllEEvT2_PKT0_PKT1_PKS1_21rocsparse_index_base_S1_PS1_PS2_SA_,@function
_ZN9rocsparseL14csr2ell_kernelILj512EdllEEvT2_PKT0_PKT1_PKS1_21rocsparse_index_base_S1_PS1_PS2_SA_: ; @_ZN9rocsparseL14csr2ell_kernelILj512EdllEEvT2_PKT0_PKT1_PKS1_21rocsparse_index_base_S1_PS1_PS2_SA_
; %bb.0:
	s_load_dwordx8 s[8:15], s[4:5], 0x0
	v_lshl_or_b32 v6, s6, 9, v0
	v_mov_b32_e32 v7, 0
	s_waitcnt lgkmcnt(0)
	v_cmp_gt_i64_e32 vcc, s[8:9], v[6:7]
	s_and_saveexec_b64 s[0:1], vcc
	s_cbranch_execz .LBB11_7
; %bb.1:
	v_lshlrev_b64 v[4:5], 3, v[6:7]
	v_mov_b32_e32 v1, s13
	v_add_co_u32_e32 v0, vcc, s12, v4
	v_addc_co_u32_e32 v1, vcc, v1, v5, vcc
	global_load_dwordx4 v[0:3], v[0:1], off
	s_load_dword s0, s[4:5], 0x20
	s_load_dwordx4 s[16:19], s[4:5], 0x28
	s_load_dwordx2 s[6:7], s[4:5], 0x38
	s_mov_b64 s[12:13], 0
	s_waitcnt lgkmcnt(0)
	v_cmp_gt_i64_e64 s[2:3], s[16:17], 0
	s_waitcnt vmcnt(0)
	v_subrev_co_u32_e32 v8, vcc, s0, v0
	v_subbrev_co_u32_e32 v14, vcc, 0, v1, vcc
	v_subrev_co_u32_e32 v2, vcc, s0, v2
	v_subbrev_co_u32_e32 v3, vcc, 0, v3, vcc
	v_ashrrev_i32_e32 v9, 31, v8
	v_cmp_gt_i64_e32 vcc, v[2:3], v[8:9]
	s_and_b64 s[2:3], s[2:3], vcc
	s_and_saveexec_b64 s[20:21], s[2:3]
	s_cbranch_execz .LBB11_4
; %bb.2:
	s_load_dword s1, s[4:5], 0x40
	v_subrev_u32_e32 v0, s0, v0
	v_add_u32_e32 v0, 1, v0
	s_mov_b64 s[4:5], 1
	v_ashrrev_i32_e32 v1, 31, v0
	s_waitcnt lgkmcnt(0)
	s_sub_u32 s22, s1, s0
	s_subb_u32 s0, 0, 0
	v_mov_b32_e32 v15, s15
	v_mov_b32_e32 v16, s0
	;; [unrolled: 1-line block ×5, first 2 shown]
	v_pk_mov_b32 v[10:11], s[16:17], s[16:17] op_sel:[0,1]
	v_pk_mov_b32 v[12:13], v[8:9], v[8:9] op_sel:[0,1]
	v_mov_b32_e32 v9, v8
.LBB11_3:                               ; =>This Inner Loop Header: Depth=1
	v_lshlrev_b64 v[12:13], 3, v[12:13]
	v_add_co_u32_e32 v20, vcc, s14, v12
	v_addc_co_u32_e32 v21, vcc, v15, v13, vcc
	v_add_co_u32_e32 v12, vcc, s10, v12
	v_addc_co_u32_e32 v13, vcc, v18, v13, vcc
	global_load_dwordx2 v[22:23], v[20:21], off
	global_load_dwordx2 v[24:25], v[12:13], off
	v_ashrrev_i32_e32 v7, 31, v6
	v_add_u32_e32 v12, 1, v9
	v_mov_b32_e32 v9, s5
	v_add_co_u32_e64 v26, s[0:1], s4, v0
	v_lshlrev_b64 v[20:21], 3, v[6:7]
	v_addc_co_u32_e64 v7, s[0:1], v1, v9, s[0:1]
	v_add_co_u32_e64 v26, s[0:1], -1, v26
	v_addc_co_u32_e64 v27, s[0:1], -1, v7, s[0:1]
	v_cmp_ge_i64_e32 vcc, s[4:5], v[10:11]
	v_cmp_le_i64_e64 s[0:1], v[2:3], v[26:27]
	s_or_b64 s[0:1], s[0:1], vcc
	v_add_co_u32_e64 v28, s[2:3], s18, v20
	s_add_u32 s4, s4, 1
	v_addc_co_u32_e64 v29, s[2:3], v17, v21, s[2:3]
	s_addc_u32 s5, s5, 0
	v_add_co_u32_e64 v20, s[2:3], s6, v20
	s_and_b64 s[0:1], exec, s[0:1]
	v_ashrrev_i32_e32 v13, 31, v12
	v_add_u32_e32 v6, s8, v6
	v_mov_b32_e32 v9, v12
	v_addc_co_u32_e64 v21, s[2:3], v19, v21, s[2:3]
	s_or_b64 s[12:13], s[0:1], s[12:13]
	s_waitcnt vmcnt(1)
	v_add_co_u32_e32 v22, vcc, s22, v22
	v_addc_co_u32_e32 v23, vcc, v16, v23, vcc
	s_waitcnt vmcnt(0)
	global_store_dwordx2 v[20:21], v[24:25], off
	global_store_dwordx2 v[28:29], v[22:23], off
	s_andn2_b64 exec, exec, s[12:13]
	s_cbranch_execnz .LBB11_3
.LBB11_4:
	s_or_b64 exec, exec, s[20:21]
	v_sub_co_u32_e32 v0, vcc, v2, v8
	v_subb_co_u32_e32 v1, vcc, v3, v14, vcc
	v_cmp_gt_i64_e32 vcc, s[16:17], v[0:1]
	s_and_b64 exec, exec, vcc
	s_cbranch_execz .LBB11_7
; %bb.5:
	v_mul_lo_u32 v6, s9, v0
	v_mul_lo_u32 v7, s8, v1
	v_mad_u64_u32 v[2:3], s[0:1], s8, v0, 0
	v_add3_u32 v3, v3, v7, v6
	v_lshlrev_b64 v[2:3], 3, v[2:3]
	v_add_co_u32_e32 v2, vcc, v2, v4
	s_lshl_b64 s[0:1], s[8:9], 3
	v_mov_b32_e32 v4, -1
	v_mov_b32_e32 v6, 0
	v_addc_co_u32_e32 v3, vcc, v3, v5, vcc
	s_mov_b64 s[2:3], 0
	v_mov_b32_e32 v8, s19
	v_mov_b32_e32 v5, v4
	;; [unrolled: 1-line block ×5, first 2 shown]
.LBB11_6:                               ; =>This Inner Loop Header: Depth=1
	v_add_co_u32_e32 v12, vcc, s18, v2
	v_addc_co_u32_e32 v13, vcc, v8, v3, vcc
	v_add_co_u32_e32 v14, vcc, s6, v2
	v_addc_co_u32_e32 v15, vcc, v9, v3, vcc
	;; [unrolled: 2-line block ×4, first 2 shown]
	v_cmp_le_i64_e32 vcc, s[16:17], v[0:1]
	s_or_b64 s[2:3], vcc, s[2:3]
	global_store_dwordx2 v[12:13], v[4:5], off
	global_store_dwordx2 v[14:15], v[6:7], off
	s_andn2_b64 exec, exec, s[2:3]
	s_cbranch_execnz .LBB11_6
.LBB11_7:
	s_endpgm
	.section	.rodata,"a",@progbits
	.p2align	6, 0x0
	.amdhsa_kernel _ZN9rocsparseL14csr2ell_kernelILj512EdllEEvT2_PKT0_PKT1_PKS1_21rocsparse_index_base_S1_PS1_PS2_SA_
		.amdhsa_group_segment_fixed_size 0
		.amdhsa_private_segment_fixed_size 0
		.amdhsa_kernarg_size 68
		.amdhsa_user_sgpr_count 6
		.amdhsa_user_sgpr_private_segment_buffer 1
		.amdhsa_user_sgpr_dispatch_ptr 0
		.amdhsa_user_sgpr_queue_ptr 0
		.amdhsa_user_sgpr_kernarg_segment_ptr 1
		.amdhsa_user_sgpr_dispatch_id 0
		.amdhsa_user_sgpr_flat_scratch_init 0
		.amdhsa_user_sgpr_kernarg_preload_length 0
		.amdhsa_user_sgpr_kernarg_preload_offset 0
		.amdhsa_user_sgpr_private_segment_size 0
		.amdhsa_uses_dynamic_stack 0
		.amdhsa_system_sgpr_private_segment_wavefront_offset 0
		.amdhsa_system_sgpr_workgroup_id_x 1
		.amdhsa_system_sgpr_workgroup_id_y 0
		.amdhsa_system_sgpr_workgroup_id_z 0
		.amdhsa_system_sgpr_workgroup_info 0
		.amdhsa_system_vgpr_workitem_id 0
		.amdhsa_next_free_vgpr 30
		.amdhsa_next_free_sgpr 23
		.amdhsa_accum_offset 32
		.amdhsa_reserve_vcc 1
		.amdhsa_reserve_flat_scratch 0
		.amdhsa_float_round_mode_32 0
		.amdhsa_float_round_mode_16_64 0
		.amdhsa_float_denorm_mode_32 3
		.amdhsa_float_denorm_mode_16_64 3
		.amdhsa_dx10_clamp 1
		.amdhsa_ieee_mode 1
		.amdhsa_fp16_overflow 0
		.amdhsa_tg_split 0
		.amdhsa_exception_fp_ieee_invalid_op 0
		.amdhsa_exception_fp_denorm_src 0
		.amdhsa_exception_fp_ieee_div_zero 0
		.amdhsa_exception_fp_ieee_overflow 0
		.amdhsa_exception_fp_ieee_underflow 0
		.amdhsa_exception_fp_ieee_inexact 0
		.amdhsa_exception_int_div_zero 0
	.end_amdhsa_kernel
	.section	.text._ZN9rocsparseL14csr2ell_kernelILj512EdllEEvT2_PKT0_PKT1_PKS1_21rocsparse_index_base_S1_PS1_PS2_SA_,"axG",@progbits,_ZN9rocsparseL14csr2ell_kernelILj512EdllEEvT2_PKT0_PKT1_PKS1_21rocsparse_index_base_S1_PS1_PS2_SA_,comdat
.Lfunc_end11:
	.size	_ZN9rocsparseL14csr2ell_kernelILj512EdllEEvT2_PKT0_PKT1_PKS1_21rocsparse_index_base_S1_PS1_PS2_SA_, .Lfunc_end11-_ZN9rocsparseL14csr2ell_kernelILj512EdllEEvT2_PKT0_PKT1_PKS1_21rocsparse_index_base_S1_PS1_PS2_SA_
                                        ; -- End function
	.section	.AMDGPU.csdata,"",@progbits
; Kernel info:
; codeLenInByte = 604
; NumSgprs: 27
; NumVgprs: 30
; NumAgprs: 0
; TotalNumVgprs: 30
; ScratchSize: 0
; MemoryBound: 0
; FloatMode: 240
; IeeeMode: 1
; LDSByteSize: 0 bytes/workgroup (compile time only)
; SGPRBlocks: 3
; VGPRBlocks: 3
; NumSGPRsForWavesPerEU: 27
; NumVGPRsForWavesPerEU: 30
; AccumOffset: 32
; Occupancy: 8
; WaveLimiterHint : 0
; COMPUTE_PGM_RSRC2:SCRATCH_EN: 0
; COMPUTE_PGM_RSRC2:USER_SGPR: 6
; COMPUTE_PGM_RSRC2:TRAP_HANDLER: 0
; COMPUTE_PGM_RSRC2:TGID_X_EN: 1
; COMPUTE_PGM_RSRC2:TGID_Y_EN: 0
; COMPUTE_PGM_RSRC2:TGID_Z_EN: 0
; COMPUTE_PGM_RSRC2:TIDIG_COMP_CNT: 0
; COMPUTE_PGM_RSRC3_GFX90A:ACCUM_OFFSET: 7
; COMPUTE_PGM_RSRC3_GFX90A:TG_SPLIT: 0
	.section	.text._ZN9rocsparseL14csr2ell_kernelILj512E21rocsparse_complex_numIfEiiEEvT2_PKT0_PKT1_PKS3_21rocsparse_index_base_S3_PS3_PS4_SC_,"axG",@progbits,_ZN9rocsparseL14csr2ell_kernelILj512E21rocsparse_complex_numIfEiiEEvT2_PKT0_PKT1_PKS3_21rocsparse_index_base_S3_PS3_PS4_SC_,comdat
	.globl	_ZN9rocsparseL14csr2ell_kernelILj512E21rocsparse_complex_numIfEiiEEvT2_PKT0_PKT1_PKS3_21rocsparse_index_base_S3_PS3_PS4_SC_ ; -- Begin function _ZN9rocsparseL14csr2ell_kernelILj512E21rocsparse_complex_numIfEiiEEvT2_PKT0_PKT1_PKS3_21rocsparse_index_base_S3_PS3_PS4_SC_
	.p2align	8
	.type	_ZN9rocsparseL14csr2ell_kernelILj512E21rocsparse_complex_numIfEiiEEvT2_PKT0_PKT1_PKS3_21rocsparse_index_base_S3_PS3_PS4_SC_,@function
_ZN9rocsparseL14csr2ell_kernelILj512E21rocsparse_complex_numIfEiiEEvT2_PKT0_PKT1_PKS3_21rocsparse_index_base_S3_PS3_PS4_SC_: ; @_ZN9rocsparseL14csr2ell_kernelILj512E21rocsparse_complex_numIfEiiEEvT2_PKT0_PKT1_PKS3_21rocsparse_index_base_S3_PS3_PS4_SC_
; %bb.0:
	s_load_dword s14, s[4:5], 0x0
	s_lshl_b32 s15, s6, 9
	v_or_b32_e32 v2, s15, v0
	s_waitcnt lgkmcnt(0)
	v_cmp_gt_i32_e32 vcc, s14, v2
	s_and_saveexec_b64 s[0:1], vcc
	s_cbranch_execz .LBB12_14
; %bb.1:
	s_load_dwordx4 s[0:3], s[4:5], 0x8
	s_load_dwordx2 s[6:7], s[4:5], 0x20
	v_ashrrev_i32_e32 v3, 31, v2
	v_lshlrev_b64 v[4:5], 2, v[2:3]
	s_load_dwordx4 s[8:11], s[4:5], 0x28
	s_waitcnt lgkmcnt(0)
	v_mov_b32_e32 v1, s3
	v_add_co_u32_e32 v4, vcc, s2, v4
	v_addc_co_u32_e32 v5, vcc, v1, v5, vcc
	global_load_dwordx2 v[6:7], v[4:5], off
	s_cmp_gt_i32 s7, 0
	s_cselect_b64 s[2:3], -1, 0
	s_waitcnt vmcnt(0)
	v_cmp_lt_i32_e32 vcc, v6, v7
	v_subrev_u32_e32 v4, s6, v6
	v_subrev_u32_e32 v1, s6, v7
	s_and_b64 s[12:13], s[2:3], vcc
	s_and_saveexec_b64 s[2:3], s[12:13]
	s_cbranch_execz .LBB12_4
; %bb.2:
	s_load_dword s16, s[4:5], 0x38
	s_load_dwordx2 s[12:13], s[4:5], 0x18
	v_ashrrev_i32_e32 v5, 31, v4
	v_lshlrev_b64 v[8:9], 2, v[4:5]
	v_lshlrev_b64 v[10:11], 3, v[4:5]
	s_waitcnt lgkmcnt(0)
	s_sub_i32 s6, s16, s6
	v_mov_b32_e32 v3, s13
	v_add_co_u32_e32 v8, vcc, s12, v8
	v_addc_co_u32_e32 v9, vcc, v3, v9, vcc
	v_mov_b32_e32 v3, s1
	v_add_co_u32_e32 v10, vcc, s0, v10
	v_addc_co_u32_e32 v11, vcc, v3, v11, vcc
	s_mov_b32 s12, 1
	s_mov_b64 s[4:5], 0
	v_mov_b32_e32 v3, s9
	v_mov_b32_e32 v5, s11
	;; [unrolled: 1-line block ×3, first 2 shown]
.LBB12_3:                               ; =>This Inner Loop Header: Depth=1
	global_load_dword v16, v[8:9], off
	v_ashrrev_i32_e32 v13, 31, v12
	v_lshlrev_b64 v[14:15], 2, v[12:13]
	v_add_co_u32_e32 v14, vcc, s8, v14
	v_addc_co_u32_e32 v15, vcc, v3, v15, vcc
	v_add_co_u32_e32 v8, vcc, 4, v8
	v_add_u32_e32 v18, s12, v4
	s_cmp_ge_i32 s12, s7
	v_addc_co_u32_e32 v9, vcc, 0, v9, vcc
	v_cmp_ge_i32_e32 vcc, v18, v1
	s_cselect_b64 s[16:17], -1, 0
	s_add_i32 s12, s12, 1
	s_waitcnt vmcnt(0)
	v_add_u32_e32 v16, s6, v16
	global_store_dword v[14:15], v16, off
	global_load_dwordx2 v[14:15], v[10:11], off
	v_lshlrev_b64 v[16:17], 3, v[12:13]
	v_add_co_u32_e64 v16, s[0:1], s10, v16
	v_addc_co_u32_e64 v17, s[0:1], v5, v17, s[0:1]
	s_or_b64 s[0:1], vcc, s[16:17]
	s_and_b64 s[0:1], exec, s[0:1]
	v_add_co_u32_e32 v10, vcc, 8, v10
	v_add_u32_e32 v12, s14, v12
	s_or_b64 s[4:5], s[0:1], s[4:5]
	v_addc_co_u32_e32 v11, vcc, 0, v11, vcc
	s_waitcnt vmcnt(0)
	global_store_dwordx2 v[16:17], v[14:15], off
	s_andn2_b64 exec, exec, s[4:5]
	s_cbranch_execnz .LBB12_3
.LBB12_4:
	s_or_b64 exec, exec, s[2:3]
	v_sub_u32_e32 v4, v1, v4
	v_cmp_gt_i32_e32 vcc, s7, v4
	s_and_b64 exec, exec, vcc
	s_cbranch_execz .LBB12_14
; %bb.5:
	v_add_u32_e32 v1, s7, v6
	v_sub_u32_e32 v3, v1, v7
	s_movk_i32 s0, 0x50
	v_cmp_gt_u32_e64 s[4:5], s0, v3
	s_movk_i32 s0, 0x4f
	v_cmp_lt_u32_e32 vcc, s0, v3
	s_and_saveexec_b64 s[12:13], vcc
	s_cbranch_execz .LBB12_11
; %bb.6:
	v_xad_u32 v8, v7, -1, v1
	v_add_u32_e32 v1, v2, v7
	v_sub_u32_e32 v6, v1, v6
	v_add_u32_e32 v1, v6, v8
	v_ashrrev_i32_e32 v7, 31, v6
	v_cmp_ge_i32_e32 vcc, v1, v6
	v_lshlrev_b64 v[6:7], 3, v[6:7]
	v_mov_b32_e32 v1, s11
	v_add_co_u32_e64 v6, s[0:1], s10, v6
	v_mov_b32_e32 v9, 0
	v_addc_co_u32_e64 v7, s[0:1], v1, v7, s[0:1]
	v_lshlrev_b64 v[8:9], 3, v[8:9]
	v_add_co_u32_e64 v8, s[0:1], v6, v8
	v_addc_co_u32_e64 v9, s[0:1], v7, v9, s[0:1]
	v_cmp_ge_u64_e64 s[0:1], v[8:9], v[6:7]
	v_add_co_u32_e64 v6, s[2:3], 4, v6
	s_cmp_eq_u32 s14, 1
	v_addc_co_u32_e64 v7, s[2:3], 0, v7, s[2:3]
	s_cselect_b64 s[16:17], -1, 0
	v_add_co_u32_e64 v8, s[2:3], 4, v8
	v_addc_co_u32_e64 v9, s[2:3], 0, v9, s[2:3]
	s_and_b64 s[16:17], s[16:17], vcc
	v_cmp_ge_u64_e64 s[2:3], v[8:9], v[6:7]
	s_and_b64 s[0:1], s[16:17], s[0:1]
	s_and_b64 s[16:17], s[0:1], s[2:3]
	s_mov_b64 s[2:3], -1
	s_and_saveexec_b64 s[0:1], s[16:17]
	s_cbranch_execz .LBB12_10
; %bb.7:
	s_mov_b32 s16, 0
	v_and_b32_e32 v12, -2, v3
	v_add_u32_e32 v5, 1, v4
	v_mov_b32_e32 v6, -1
	s_mov_b32 s17, s16
	v_mov_b32_e32 v1, v2
	s_mov_b64 s[2:3], 0
	v_mov_b32_e32 v13, s9
	v_mov_b32_e32 v7, v6
	;; [unrolled: 1-line block ×3, first 2 shown]
	v_pk_mov_b32 v[8:9], s[16:17], s[16:17] op_sel:[0,1]
	v_mov_b32_e32 v15, v12
	v_pk_mov_b32 v[10:11], v[4:5], v[4:5] op_sel:[0,1]
.LBB12_8:                               ; =>This Inner Loop Header: Depth=1
	v_add_u32_e32 v16, v10, v2
	v_add_u32_e32 v15, -2, v15
	v_ashrrev_i32_e32 v17, 31, v16
	v_cmp_eq_u32_e32 vcc, 0, v15
	v_lshlrev_b64 v[20:21], 2, v[16:17]
	s_or_b64 s[2:3], vcc, s[2:3]
	v_add_co_u32_e32 v20, vcc, s8, v20
	v_add_u32_e32 v18, v11, v1
	v_lshlrev_b64 v[16:17], 3, v[16:17]
	v_addc_co_u32_e32 v21, vcc, v13, v21, vcc
	v_ashrrev_i32_e32 v19, 31, v18
	v_add_co_u32_e32 v16, vcc, s10, v16
	v_lshlrev_b64 v[18:19], 3, v[18:19]
	v_addc_co_u32_e32 v17, vcc, v14, v17, vcc
	v_add_u32_e32 v11, 2, v11
	v_add_u32_e32 v10, 2, v10
	v_add_co_u32_e32 v18, vcc, s10, v18
	v_addc_co_u32_e32 v19, vcc, v14, v19, vcc
	global_store_dwordx2 v[20:21], v[6:7], off
	global_store_dwordx2 v[16:17], v[8:9], off
	;; [unrolled: 1-line block ×3, first 2 shown]
	s_andn2_b64 exec, exec, s[2:3]
	s_cbranch_execnz .LBB12_8
; %bb.9:
	s_or_b64 exec, exec, s[2:3]
	v_cmp_ne_u32_e32 vcc, v3, v12
	v_add_u32_e32 v4, v4, v12
	s_orn2_b64 s[2:3], vcc, exec
.LBB12_10:
	s_or_b64 exec, exec, s[0:1]
	s_andn2_b64 s[0:1], s[4:5], exec
	s_and_b64 s[2:3], s[2:3], exec
	s_or_b64 s[4:5], s[0:1], s[2:3]
.LBB12_11:
	s_or_b64 exec, exec, s[12:13]
	s_and_b64 exec, exec, s[4:5]
	s_cbranch_execz .LBB12_14
; %bb.12:
	v_mul_lo_u32 v1, v4, s14
	v_mov_b32_e32 v2, 0
	v_add3_u32 v0, v0, v1, s15
	s_mov_b64 s[0:1], 0
	v_mov_b32_e32 v5, s9
	v_mov_b32_e32 v6, -1
	v_mov_b32_e32 v7, s11
	v_mov_b32_e32 v3, v2
.LBB12_13:                              ; =>This Inner Loop Header: Depth=1
	v_ashrrev_i32_e32 v1, 31, v0
	v_lshlrev_b64 v[8:9], 2, v[0:1]
	v_add_co_u32_e32 v8, vcc, s8, v8
	v_addc_co_u32_e32 v9, vcc, v5, v9, vcc
	global_store_dword v[8:9], v6, off
	v_lshlrev_b64 v[8:9], 3, v[0:1]
	v_add_co_u32_e32 v8, vcc, s10, v8
	v_addc_co_u32_e32 v9, vcc, v7, v9, vcc
	v_add_u32_e32 v4, 1, v4
	v_cmp_le_i32_e32 vcc, s7, v4
	s_or_b64 s[0:1], vcc, s[0:1]
	v_add_u32_e32 v0, s14, v0
	global_store_dwordx2 v[8:9], v[2:3], off
	s_andn2_b64 exec, exec, s[0:1]
	s_cbranch_execnz .LBB12_13
.LBB12_14:
	s_endpgm
	.section	.rodata,"a",@progbits
	.p2align	6, 0x0
	.amdhsa_kernel _ZN9rocsparseL14csr2ell_kernelILj512E21rocsparse_complex_numIfEiiEEvT2_PKT0_PKT1_PKS3_21rocsparse_index_base_S3_PS3_PS4_SC_
		.amdhsa_group_segment_fixed_size 0
		.amdhsa_private_segment_fixed_size 0
		.amdhsa_kernarg_size 60
		.amdhsa_user_sgpr_count 6
		.amdhsa_user_sgpr_private_segment_buffer 1
		.amdhsa_user_sgpr_dispatch_ptr 0
		.amdhsa_user_sgpr_queue_ptr 0
		.amdhsa_user_sgpr_kernarg_segment_ptr 1
		.amdhsa_user_sgpr_dispatch_id 0
		.amdhsa_user_sgpr_flat_scratch_init 0
		.amdhsa_user_sgpr_kernarg_preload_length 0
		.amdhsa_user_sgpr_kernarg_preload_offset 0
		.amdhsa_user_sgpr_private_segment_size 0
		.amdhsa_uses_dynamic_stack 0
		.amdhsa_system_sgpr_private_segment_wavefront_offset 0
		.amdhsa_system_sgpr_workgroup_id_x 1
		.amdhsa_system_sgpr_workgroup_id_y 0
		.amdhsa_system_sgpr_workgroup_id_z 0
		.amdhsa_system_sgpr_workgroup_info 0
		.amdhsa_system_vgpr_workitem_id 0
		.amdhsa_next_free_vgpr 22
		.amdhsa_next_free_sgpr 18
		.amdhsa_accum_offset 24
		.amdhsa_reserve_vcc 1
		.amdhsa_reserve_flat_scratch 0
		.amdhsa_float_round_mode_32 0
		.amdhsa_float_round_mode_16_64 0
		.amdhsa_float_denorm_mode_32 3
		.amdhsa_float_denorm_mode_16_64 3
		.amdhsa_dx10_clamp 1
		.amdhsa_ieee_mode 1
		.amdhsa_fp16_overflow 0
		.amdhsa_tg_split 0
		.amdhsa_exception_fp_ieee_invalid_op 0
		.amdhsa_exception_fp_denorm_src 0
		.amdhsa_exception_fp_ieee_div_zero 0
		.amdhsa_exception_fp_ieee_overflow 0
		.amdhsa_exception_fp_ieee_underflow 0
		.amdhsa_exception_fp_ieee_inexact 0
		.amdhsa_exception_int_div_zero 0
	.end_amdhsa_kernel
	.section	.text._ZN9rocsparseL14csr2ell_kernelILj512E21rocsparse_complex_numIfEiiEEvT2_PKT0_PKT1_PKS3_21rocsparse_index_base_S3_PS3_PS4_SC_,"axG",@progbits,_ZN9rocsparseL14csr2ell_kernelILj512E21rocsparse_complex_numIfEiiEEvT2_PKT0_PKT1_PKS3_21rocsparse_index_base_S3_PS3_PS4_SC_,comdat
.Lfunc_end12:
	.size	_ZN9rocsparseL14csr2ell_kernelILj512E21rocsparse_complex_numIfEiiEEvT2_PKT0_PKT1_PKS3_21rocsparse_index_base_S3_PS3_PS4_SC_, .Lfunc_end12-_ZN9rocsparseL14csr2ell_kernelILj512E21rocsparse_complex_numIfEiiEEvT2_PKT0_PKT1_PKS3_21rocsparse_index_base_S3_PS3_PS4_SC_
                                        ; -- End function
	.section	.AMDGPU.csdata,"",@progbits
; Kernel info:
; codeLenInByte = 924
; NumSgprs: 22
; NumVgprs: 22
; NumAgprs: 0
; TotalNumVgprs: 22
; ScratchSize: 0
; MemoryBound: 0
; FloatMode: 240
; IeeeMode: 1
; LDSByteSize: 0 bytes/workgroup (compile time only)
; SGPRBlocks: 2
; VGPRBlocks: 2
; NumSGPRsForWavesPerEU: 22
; NumVGPRsForWavesPerEU: 22
; AccumOffset: 24
; Occupancy: 8
; WaveLimiterHint : 0
; COMPUTE_PGM_RSRC2:SCRATCH_EN: 0
; COMPUTE_PGM_RSRC2:USER_SGPR: 6
; COMPUTE_PGM_RSRC2:TRAP_HANDLER: 0
; COMPUTE_PGM_RSRC2:TGID_X_EN: 1
; COMPUTE_PGM_RSRC2:TGID_Y_EN: 0
; COMPUTE_PGM_RSRC2:TGID_Z_EN: 0
; COMPUTE_PGM_RSRC2:TIDIG_COMP_CNT: 0
; COMPUTE_PGM_RSRC3_GFX90A:ACCUM_OFFSET: 5
; COMPUTE_PGM_RSRC3_GFX90A:TG_SPLIT: 0
	.section	.text._ZN9rocsparseL14csr2ell_kernelILj512E21rocsparse_complex_numIfEliEEvT2_PKT0_PKT1_PKS3_21rocsparse_index_base_S3_PS3_PS4_SC_,"axG",@progbits,_ZN9rocsparseL14csr2ell_kernelILj512E21rocsparse_complex_numIfEliEEvT2_PKT0_PKT1_PKS3_21rocsparse_index_base_S3_PS3_PS4_SC_,comdat
	.globl	_ZN9rocsparseL14csr2ell_kernelILj512E21rocsparse_complex_numIfEliEEvT2_PKT0_PKT1_PKS3_21rocsparse_index_base_S3_PS3_PS4_SC_ ; -- Begin function _ZN9rocsparseL14csr2ell_kernelILj512E21rocsparse_complex_numIfEliEEvT2_PKT0_PKT1_PKS3_21rocsparse_index_base_S3_PS3_PS4_SC_
	.p2align	8
	.type	_ZN9rocsparseL14csr2ell_kernelILj512E21rocsparse_complex_numIfEliEEvT2_PKT0_PKT1_PKS3_21rocsparse_index_base_S3_PS3_PS4_SC_,@function
_ZN9rocsparseL14csr2ell_kernelILj512E21rocsparse_complex_numIfEliEEvT2_PKT0_PKT1_PKS3_21rocsparse_index_base_S3_PS3_PS4_SC_: ; @_ZN9rocsparseL14csr2ell_kernelILj512E21rocsparse_complex_numIfEliEEvT2_PKT0_PKT1_PKS3_21rocsparse_index_base_S3_PS3_PS4_SC_
; %bb.0:
	s_load_dword s16, s[4:5], 0x0
	s_lshl_b32 s17, s6, 9
	v_or_b32_e32 v6, s17, v0
	s_waitcnt lgkmcnt(0)
	v_cmp_gt_i32_e32 vcc, s16, v6
	s_and_saveexec_b64 s[0:1], vcc
	s_cbranch_execz .LBB13_14
; %bb.1:
	s_load_dwordx4 s[0:3], s[4:5], 0x8
	s_load_dwordx2 s[6:7], s[4:5], 0x20
	v_ashrrev_i32_e32 v7, 31, v6
	v_lshlrev_b64 v[2:3], 3, v[6:7]
	s_load_dwordx4 s[8:11], s[4:5], 0x28
	s_waitcnt lgkmcnt(0)
	v_mov_b32_e32 v1, s3
	v_add_co_u32_e32 v2, vcc, s2, v2
	v_addc_co_u32_e32 v3, vcc, v1, v3, vcc
	global_load_dwordx4 v[2:5], v[2:3], off
	s_cmp_gt_i32 s7, 0
	s_cselect_b64 s[2:3], -1, 0
	s_waitcnt vmcnt(0)
	v_subrev_co_u32_e32 v8, vcc, s6, v2
	v_subrev_co_u32_e32 v10, vcc, s6, v4
	v_subbrev_co_u32_e32 v11, vcc, 0, v5, vcc
	v_ashrrev_i32_e32 v9, 31, v8
	v_cmp_gt_i64_e32 vcc, v[10:11], v[8:9]
	s_and_b64 s[12:13], s[2:3], vcc
	s_and_saveexec_b64 s[2:3], s[12:13]
	s_cbranch_execz .LBB13_4
; %bb.2:
	s_load_dword s14, s[4:5], 0x38
	s_load_dwordx2 s[12:13], s[4:5], 0x18
	v_subrev_u32_e32 v1, s6, v2
	v_add_u32_e32 v12, 1, v1
	v_ashrrev_i32_e32 v1, 31, v12
	s_waitcnt lgkmcnt(0)
	s_sub_i32 s6, s14, s6
	s_mov_b64 s[4:5], 0
	v_mov_b32_e32 v3, s13
	v_mov_b32_e32 v5, s9
	;; [unrolled: 1-line block ×4, first 2 shown]
	s_mov_b64 s[14:15], 0
	v_mov_b32_e32 v14, v6
	v_pk_mov_b32 v[16:17], v[8:9], v[8:9] op_sel:[0,1]
	v_mov_b32_e32 v9, v8
.LBB13_3:                               ; =>This Inner Loop Header: Depth=1
	v_lshlrev_b64 v[18:19], 2, v[16:17]
	v_add_co_u32_e32 v18, vcc, s12, v18
	v_addc_co_u32_e32 v19, vcc, v3, v19, vcc
	global_load_dword v20, v[18:19], off
	v_lshlrev_b64 v[16:17], 3, v[16:17]
	v_ashrrev_i32_e32 v15, 31, v14
	v_add_co_u32_e32 v16, vcc, s0, v16
	v_lshlrev_b64 v[18:19], 2, v[14:15]
	v_addc_co_u32_e32 v17, vcc, v7, v17, vcc
	v_add_co_u32_e32 v18, vcc, s8, v18
	v_addc_co_u32_e32 v19, vcc, v5, v19, vcc
	s_add_u32 s18, s14, 1
	v_lshlrev_b64 v[22:23], 3, v[14:15]
	s_addc_u32 s19, s15, 0
	s_cmp_ge_i32 s18, s7
	v_add_u32_e32 v14, s16, v14
	s_waitcnt vmcnt(0)
	v_add_u32_e32 v20, s6, v20
	global_store_dword v[18:19], v20, off
	global_load_dwordx2 v[18:19], v[16:17], off
	v_add_u32_e32 v16, 1, v9
	v_mov_b32_e32 v9, s15
	v_add_co_u32_e32 v20, vcc, s14, v12
	v_addc_co_u32_e32 v21, vcc, v1, v9, vcc
	v_add_co_u32_e32 v22, vcc, s10, v22
	v_addc_co_u32_e32 v23, vcc, v13, v23, vcc
	v_cmp_le_i64_e32 vcc, v[10:11], v[20:21]
	s_mov_b64 s[14:15], s[18:19]
	s_cselect_b64 s[18:19], -1, 0
	s_or_b64 s[18:19], vcc, s[18:19]
	s_and_b64 s[18:19], exec, s[18:19]
	v_ashrrev_i32_e32 v17, 31, v16
	v_mov_b32_e32 v9, v16
	s_or_b64 s[4:5], s[18:19], s[4:5]
	s_waitcnt vmcnt(0)
	global_store_dwordx2 v[22:23], v[18:19], off
	s_andn2_b64 exec, exec, s[4:5]
	s_cbranch_execnz .LBB13_3
.LBB13_4:
	s_or_b64 exec, exec, s[2:3]
	v_sub_u32_e32 v8, v10, v8
	v_cmp_gt_i32_e32 vcc, s7, v8
	s_and_b64 exec, exec, vcc
	s_cbranch_execz .LBB13_14
; %bb.5:
	v_add_u32_e32 v1, s7, v2
	v_sub_u32_e32 v7, v1, v4
	s_movk_i32 s0, 0x50
	v_cmp_gt_u32_e64 s[4:5], s0, v7
	s_movk_i32 s0, 0x4f
	v_cmp_lt_u32_e32 vcc, s0, v7
	s_and_saveexec_b64 s[12:13], vcc
	s_cbranch_execz .LBB13_11
; %bb.6:
	v_xad_u32 v10, v4, -1, v1
	v_add_u32_e32 v1, v6, v4
	v_sub_u32_e32 v2, v1, v2
	v_add_u32_e32 v1, v2, v10
	v_ashrrev_i32_e32 v3, 31, v2
	v_cmp_ge_i32_e32 vcc, v1, v2
	v_lshlrev_b64 v[2:3], 3, v[2:3]
	v_mov_b32_e32 v1, s11
	v_add_co_u32_e64 v2, s[0:1], s10, v2
	v_mov_b32_e32 v11, 0
	v_addc_co_u32_e64 v3, s[0:1], v1, v3, s[0:1]
	v_lshlrev_b64 v[4:5], 3, v[10:11]
	v_add_co_u32_e64 v4, s[0:1], v2, v4
	v_addc_co_u32_e64 v5, s[0:1], v3, v5, s[0:1]
	v_cmp_ge_u64_e64 s[0:1], v[4:5], v[2:3]
	v_add_co_u32_e64 v2, s[2:3], 4, v2
	s_cmp_eq_u32 s16, 1
	v_addc_co_u32_e64 v3, s[2:3], 0, v3, s[2:3]
	s_cselect_b64 s[14:15], -1, 0
	v_add_co_u32_e64 v4, s[2:3], 4, v4
	v_addc_co_u32_e64 v5, s[2:3], 0, v5, s[2:3]
	s_and_b64 s[14:15], s[14:15], vcc
	v_cmp_ge_u64_e64 s[2:3], v[4:5], v[2:3]
	s_and_b64 s[0:1], s[14:15], s[0:1]
	s_and_b64 s[14:15], s[0:1], s[2:3]
	s_mov_b64 s[2:3], -1
	s_and_saveexec_b64 s[0:1], s[14:15]
	s_cbranch_execz .LBB13_10
; %bb.7:
	s_mov_b32 s14, 0
	v_and_b32_e32 v12, -2, v7
	v_add_u32_e32 v9, 1, v8
	v_mov_b32_e32 v2, -1
	s_mov_b32 s15, s14
	v_mov_b32_e32 v1, v6
	s_mov_b64 s[2:3], 0
	v_mov_b32_e32 v13, s9
	v_mov_b32_e32 v3, v2
	;; [unrolled: 1-line block ×3, first 2 shown]
	v_pk_mov_b32 v[4:5], s[14:15], s[14:15] op_sel:[0,1]
	v_mov_b32_e32 v15, v12
	v_pk_mov_b32 v[10:11], v[8:9], v[8:9] op_sel:[0,1]
.LBB13_8:                               ; =>This Inner Loop Header: Depth=1
	v_add_u32_e32 v16, v10, v6
	v_add_u32_e32 v15, -2, v15
	v_ashrrev_i32_e32 v17, 31, v16
	v_cmp_eq_u32_e32 vcc, 0, v15
	v_lshlrev_b64 v[20:21], 2, v[16:17]
	s_or_b64 s[2:3], vcc, s[2:3]
	v_add_co_u32_e32 v20, vcc, s8, v20
	v_add_u32_e32 v18, v11, v1
	v_lshlrev_b64 v[16:17], 3, v[16:17]
	v_addc_co_u32_e32 v21, vcc, v13, v21, vcc
	v_ashrrev_i32_e32 v19, 31, v18
	v_add_co_u32_e32 v16, vcc, s10, v16
	v_lshlrev_b64 v[18:19], 3, v[18:19]
	v_addc_co_u32_e32 v17, vcc, v14, v17, vcc
	v_add_u32_e32 v11, 2, v11
	v_add_u32_e32 v10, 2, v10
	v_add_co_u32_e32 v18, vcc, s10, v18
	v_addc_co_u32_e32 v19, vcc, v14, v19, vcc
	global_store_dwordx2 v[20:21], v[2:3], off
	global_store_dwordx2 v[16:17], v[4:5], off
	;; [unrolled: 1-line block ×3, first 2 shown]
	s_andn2_b64 exec, exec, s[2:3]
	s_cbranch_execnz .LBB13_8
; %bb.9:
	s_or_b64 exec, exec, s[2:3]
	v_cmp_ne_u32_e32 vcc, v7, v12
	v_add_u32_e32 v8, v12, v8
	s_orn2_b64 s[2:3], vcc, exec
.LBB13_10:
	s_or_b64 exec, exec, s[0:1]
	s_andn2_b64 s[0:1], s[4:5], exec
	s_and_b64 s[2:3], s[2:3], exec
	s_or_b64 s[4:5], s[0:1], s[2:3]
.LBB13_11:
	s_or_b64 exec, exec, s[12:13]
	s_and_b64 exec, exec, s[4:5]
	s_cbranch_execz .LBB13_14
; %bb.12:
	v_mul_lo_u32 v1, v8, s16
	v_mov_b32_e32 v2, 0
	v_add3_u32 v0, v0, v1, s17
	s_mov_b64 s[0:1], 0
	v_mov_b32_e32 v4, s9
	v_mov_b32_e32 v5, -1
	v_mov_b32_e32 v6, s11
	v_mov_b32_e32 v3, v2
.LBB13_13:                              ; =>This Inner Loop Header: Depth=1
	v_ashrrev_i32_e32 v1, 31, v0
	v_lshlrev_b64 v[10:11], 2, v[0:1]
	v_add_co_u32_e32 v10, vcc, s8, v10
	v_addc_co_u32_e32 v11, vcc, v4, v11, vcc
	global_store_dword v[10:11], v5, off
	v_lshlrev_b64 v[10:11], 3, v[0:1]
	v_add_co_u32_e32 v10, vcc, s10, v10
	v_addc_co_u32_e32 v11, vcc, v6, v11, vcc
	v_add_u32_e32 v8, 1, v8
	v_cmp_le_i32_e32 vcc, s7, v8
	s_or_b64 s[0:1], vcc, s[0:1]
	v_add_u32_e32 v0, s16, v0
	global_store_dwordx2 v[10:11], v[2:3], off
	s_andn2_b64 exec, exec, s[0:1]
	s_cbranch_execnz .LBB13_13
.LBB13_14:
	s_endpgm
	.section	.rodata,"a",@progbits
	.p2align	6, 0x0
	.amdhsa_kernel _ZN9rocsparseL14csr2ell_kernelILj512E21rocsparse_complex_numIfEliEEvT2_PKT0_PKT1_PKS3_21rocsparse_index_base_S3_PS3_PS4_SC_
		.amdhsa_group_segment_fixed_size 0
		.amdhsa_private_segment_fixed_size 0
		.amdhsa_kernarg_size 60
		.amdhsa_user_sgpr_count 6
		.amdhsa_user_sgpr_private_segment_buffer 1
		.amdhsa_user_sgpr_dispatch_ptr 0
		.amdhsa_user_sgpr_queue_ptr 0
		.amdhsa_user_sgpr_kernarg_segment_ptr 1
		.amdhsa_user_sgpr_dispatch_id 0
		.amdhsa_user_sgpr_flat_scratch_init 0
		.amdhsa_user_sgpr_kernarg_preload_length 0
		.amdhsa_user_sgpr_kernarg_preload_offset 0
		.amdhsa_user_sgpr_private_segment_size 0
		.amdhsa_uses_dynamic_stack 0
		.amdhsa_system_sgpr_private_segment_wavefront_offset 0
		.amdhsa_system_sgpr_workgroup_id_x 1
		.amdhsa_system_sgpr_workgroup_id_y 0
		.amdhsa_system_sgpr_workgroup_id_z 0
		.amdhsa_system_sgpr_workgroup_info 0
		.amdhsa_system_vgpr_workitem_id 0
		.amdhsa_next_free_vgpr 24
		.amdhsa_next_free_sgpr 20
		.amdhsa_accum_offset 24
		.amdhsa_reserve_vcc 1
		.amdhsa_reserve_flat_scratch 0
		.amdhsa_float_round_mode_32 0
		.amdhsa_float_round_mode_16_64 0
		.amdhsa_float_denorm_mode_32 3
		.amdhsa_float_denorm_mode_16_64 3
		.amdhsa_dx10_clamp 1
		.amdhsa_ieee_mode 1
		.amdhsa_fp16_overflow 0
		.amdhsa_tg_split 0
		.amdhsa_exception_fp_ieee_invalid_op 0
		.amdhsa_exception_fp_denorm_src 0
		.amdhsa_exception_fp_ieee_div_zero 0
		.amdhsa_exception_fp_ieee_overflow 0
		.amdhsa_exception_fp_ieee_underflow 0
		.amdhsa_exception_fp_ieee_inexact 0
		.amdhsa_exception_int_div_zero 0
	.end_amdhsa_kernel
	.section	.text._ZN9rocsparseL14csr2ell_kernelILj512E21rocsparse_complex_numIfEliEEvT2_PKT0_PKT1_PKS3_21rocsparse_index_base_S3_PS3_PS4_SC_,"axG",@progbits,_ZN9rocsparseL14csr2ell_kernelILj512E21rocsparse_complex_numIfEliEEvT2_PKT0_PKT1_PKS3_21rocsparse_index_base_S3_PS3_PS4_SC_,comdat
.Lfunc_end13:
	.size	_ZN9rocsparseL14csr2ell_kernelILj512E21rocsparse_complex_numIfEliEEvT2_PKT0_PKT1_PKS3_21rocsparse_index_base_S3_PS3_PS4_SC_, .Lfunc_end13-_ZN9rocsparseL14csr2ell_kernelILj512E21rocsparse_complex_numIfEliEEvT2_PKT0_PKT1_PKS3_21rocsparse_index_base_S3_PS3_PS4_SC_
                                        ; -- End function
	.section	.AMDGPU.csdata,"",@progbits
; Kernel info:
; codeLenInByte = 956
; NumSgprs: 24
; NumVgprs: 24
; NumAgprs: 0
; TotalNumVgprs: 24
; ScratchSize: 0
; MemoryBound: 0
; FloatMode: 240
; IeeeMode: 1
; LDSByteSize: 0 bytes/workgroup (compile time only)
; SGPRBlocks: 2
; VGPRBlocks: 2
; NumSGPRsForWavesPerEU: 24
; NumVGPRsForWavesPerEU: 24
; AccumOffset: 24
; Occupancy: 8
; WaveLimiterHint : 0
; COMPUTE_PGM_RSRC2:SCRATCH_EN: 0
; COMPUTE_PGM_RSRC2:USER_SGPR: 6
; COMPUTE_PGM_RSRC2:TRAP_HANDLER: 0
; COMPUTE_PGM_RSRC2:TGID_X_EN: 1
; COMPUTE_PGM_RSRC2:TGID_Y_EN: 0
; COMPUTE_PGM_RSRC2:TGID_Z_EN: 0
; COMPUTE_PGM_RSRC2:TIDIG_COMP_CNT: 0
; COMPUTE_PGM_RSRC3_GFX90A:ACCUM_OFFSET: 5
; COMPUTE_PGM_RSRC3_GFX90A:TG_SPLIT: 0
	.section	.text._ZN9rocsparseL14csr2ell_kernelILj512E21rocsparse_complex_numIfEilEEvT2_PKT0_PKT1_PKS3_21rocsparse_index_base_S3_PS3_PS4_SC_,"axG",@progbits,_ZN9rocsparseL14csr2ell_kernelILj512E21rocsparse_complex_numIfEilEEvT2_PKT0_PKT1_PKS3_21rocsparse_index_base_S3_PS3_PS4_SC_,comdat
	.globl	_ZN9rocsparseL14csr2ell_kernelILj512E21rocsparse_complex_numIfEilEEvT2_PKT0_PKT1_PKS3_21rocsparse_index_base_S3_PS3_PS4_SC_ ; -- Begin function _ZN9rocsparseL14csr2ell_kernelILj512E21rocsparse_complex_numIfEilEEvT2_PKT0_PKT1_PKS3_21rocsparse_index_base_S3_PS3_PS4_SC_
	.p2align	8
	.type	_ZN9rocsparseL14csr2ell_kernelILj512E21rocsparse_complex_numIfEilEEvT2_PKT0_PKT1_PKS3_21rocsparse_index_base_S3_PS3_PS4_SC_,@function
_ZN9rocsparseL14csr2ell_kernelILj512E21rocsparse_complex_numIfEilEEvT2_PKT0_PKT1_PKS3_21rocsparse_index_base_S3_PS3_PS4_SC_: ; @_ZN9rocsparseL14csr2ell_kernelILj512E21rocsparse_complex_numIfEilEEvT2_PKT0_PKT1_PKS3_21rocsparse_index_base_S3_PS3_PS4_SC_
; %bb.0:
	s_load_dwordx8 s[8:15], s[4:5], 0x0
	s_lshl_b32 s22, s6, 9
	v_or_b32_e32 v2, s22, v0
	v_mov_b32_e32 v3, 0
	s_waitcnt lgkmcnt(0)
	v_cmp_gt_i64_e32 vcc, s[8:9], v[2:3]
	s_and_saveexec_b64 s[0:1], vcc
	s_cbranch_execz .LBB14_7
; %bb.1:
	v_lshlrev_b64 v[4:5], 2, v[2:3]
	v_mov_b32_e32 v1, s13
	v_add_co_u32_e32 v4, vcc, s12, v4
	v_addc_co_u32_e32 v5, vcc, v1, v5, vcc
	global_load_dwordx2 v[6:7], v[4:5], off
	s_load_dword s0, s[4:5], 0x20
	s_load_dwordx4 s[16:19], s[4:5], 0x28
	s_load_dwordx2 s[6:7], s[4:5], 0x38
	s_mov_b64 s[12:13], 0
	s_waitcnt lgkmcnt(0)
	v_cmp_gt_i64_e64 s[2:3], s[16:17], 0
	s_waitcnt vmcnt(0)
	v_cmp_lt_i32_e32 vcc, v6, v7
	v_subrev_u32_e32 v4, s0, v6
	v_subrev_u32_e32 v1, s0, v7
	s_and_b64 s[2:3], s[2:3], vcc
	s_and_saveexec_b64 s[20:21], s[2:3]
	s_cbranch_execz .LBB14_4
; %bb.2:
	s_load_dword s1, s[4:5], 0x40
	v_ashrrev_i32_e32 v5, 31, v4
	v_lshlrev_b64 v[8:9], 3, v[4:5]
	v_mov_b32_e32 v3, s15
	v_add_co_u32_e32 v6, vcc, s14, v8
	s_waitcnt lgkmcnt(0)
	s_sub_u32 s9, s1, s0
	v_addc_co_u32_e32 v7, vcc, v3, v9, vcc
	s_subb_u32 s0, 0, 0
	v_mov_b32_e32 v3, s11
	v_add_co_u32_e32 v8, vcc, s10, v8
	v_addc_co_u32_e32 v9, vcc, v3, v9, vcc
	s_mov_b64 s[4:5], 1
	v_mov_b32_e32 v5, s0
	v_mov_b32_e32 v12, s19
	;; [unrolled: 1-line block ×3, first 2 shown]
	v_pk_mov_b32 v[10:11], s[16:17], s[16:17] op_sel:[0,1]
.LBB14_3:                               ; =>This Inner Loop Header: Depth=1
	global_load_dwordx2 v[14:15], v[6:7], off
	v_ashrrev_i32_e32 v3, 31, v2
	v_lshlrev_b64 v[16:17], 3, v[2:3]
	v_add_co_u32_e32 v18, vcc, s18, v16
	v_addc_co_u32_e32 v19, vcc, v12, v17, vcc
	v_add_co_u32_e64 v6, s[0:1], 8, v6
	v_add_u32_e32 v3, s4, v4
	v_addc_co_u32_e64 v7, s[0:1], 0, v7, s[0:1]
	v_cmp_ge_i32_e64 s[0:1], v3, v1
	v_add_co_u32_e64 v16, s[2:3], s6, v16
	v_add_u32_e32 v2, s8, v2
	v_addc_co_u32_e64 v17, s[2:3], v13, v17, s[2:3]
	s_waitcnt vmcnt(0)
	v_add_co_u32_e32 v14, vcc, s9, v14
	v_addc_co_u32_e32 v15, vcc, v5, v15, vcc
	global_store_dwordx2 v[18:19], v[14:15], off
	global_load_dwordx2 v[14:15], v[8:9], off
	v_cmp_ge_i64_e32 vcc, s[4:5], v[10:11]
	s_or_b64 s[0:1], s[0:1], vcc
	s_add_u32 s4, s4, 1
	s_addc_u32 s5, s5, 0
	s_and_b64 s[0:1], exec, s[0:1]
	v_add_co_u32_e32 v8, vcc, 8, v8
	s_or_b64 s[12:13], s[0:1], s[12:13]
	v_addc_co_u32_e32 v9, vcc, 0, v9, vcc
	s_waitcnt vmcnt(0)
	global_store_dwordx2 v[16:17], v[14:15], off
	s_andn2_b64 exec, exec, s[12:13]
	s_cbranch_execnz .LBB14_3
.LBB14_4:
	s_or_b64 exec, exec, s[20:21]
	v_sub_u32_e32 v2, v1, v4
	v_ashrrev_i32_e32 v3, 31, v2
	v_cmp_gt_i64_e32 vcc, s[16:17], v[2:3]
	s_and_b64 exec, exec, vcc
	s_cbranch_execz .LBB14_7
; %bb.5:
	v_mul_lo_u32 v1, v2, s8
	v_mov_b32_e32 v4, -1
	v_mov_b32_e32 v6, 0
	v_add3_u32 v0, v0, v1, s22
	s_mov_b64 s[0:1], 0
	v_mov_b32_e32 v8, s19
	v_mov_b32_e32 v5, v4
	;; [unrolled: 1-line block ×4, first 2 shown]
.LBB14_6:                               ; =>This Inner Loop Header: Depth=1
	v_ashrrev_i32_e32 v1, 31, v0
	v_lshlrev_b64 v[10:11], 3, v[0:1]
	v_add_co_u32_e32 v12, vcc, s18, v10
	v_addc_co_u32_e32 v13, vcc, v8, v11, vcc
	v_add_co_u32_e32 v10, vcc, s6, v10
	v_addc_co_u32_e32 v11, vcc, v9, v11, vcc
	;; [unrolled: 2-line block ×3, first 2 shown]
	v_cmp_le_i64_e32 vcc, s[16:17], v[2:3]
	s_or_b64 s[0:1], vcc, s[0:1]
	v_add_u32_e32 v0, s8, v0
	global_store_dwordx2 v[12:13], v[4:5], off
	global_store_dwordx2 v[10:11], v[6:7], off
	s_andn2_b64 exec, exec, s[0:1]
	s_cbranch_execnz .LBB14_6
.LBB14_7:
	s_endpgm
	.section	.rodata,"a",@progbits
	.p2align	6, 0x0
	.amdhsa_kernel _ZN9rocsparseL14csr2ell_kernelILj512E21rocsparse_complex_numIfEilEEvT2_PKT0_PKT1_PKS3_21rocsparse_index_base_S3_PS3_PS4_SC_
		.amdhsa_group_segment_fixed_size 0
		.amdhsa_private_segment_fixed_size 0
		.amdhsa_kernarg_size 68
		.amdhsa_user_sgpr_count 6
		.amdhsa_user_sgpr_private_segment_buffer 1
		.amdhsa_user_sgpr_dispatch_ptr 0
		.amdhsa_user_sgpr_queue_ptr 0
		.amdhsa_user_sgpr_kernarg_segment_ptr 1
		.amdhsa_user_sgpr_dispatch_id 0
		.amdhsa_user_sgpr_flat_scratch_init 0
		.amdhsa_user_sgpr_kernarg_preload_length 0
		.amdhsa_user_sgpr_kernarg_preload_offset 0
		.amdhsa_user_sgpr_private_segment_size 0
		.amdhsa_uses_dynamic_stack 0
		.amdhsa_system_sgpr_private_segment_wavefront_offset 0
		.amdhsa_system_sgpr_workgroup_id_x 1
		.amdhsa_system_sgpr_workgroup_id_y 0
		.amdhsa_system_sgpr_workgroup_id_z 0
		.amdhsa_system_sgpr_workgroup_info 0
		.amdhsa_system_vgpr_workitem_id 0
		.amdhsa_next_free_vgpr 20
		.amdhsa_next_free_sgpr 23
		.amdhsa_accum_offset 20
		.amdhsa_reserve_vcc 1
		.amdhsa_reserve_flat_scratch 0
		.amdhsa_float_round_mode_32 0
		.amdhsa_float_round_mode_16_64 0
		.amdhsa_float_denorm_mode_32 3
		.amdhsa_float_denorm_mode_16_64 3
		.amdhsa_dx10_clamp 1
		.amdhsa_ieee_mode 1
		.amdhsa_fp16_overflow 0
		.amdhsa_tg_split 0
		.amdhsa_exception_fp_ieee_invalid_op 0
		.amdhsa_exception_fp_denorm_src 0
		.amdhsa_exception_fp_ieee_div_zero 0
		.amdhsa_exception_fp_ieee_overflow 0
		.amdhsa_exception_fp_ieee_underflow 0
		.amdhsa_exception_fp_ieee_inexact 0
		.amdhsa_exception_int_div_zero 0
	.end_amdhsa_kernel
	.section	.text._ZN9rocsparseL14csr2ell_kernelILj512E21rocsparse_complex_numIfEilEEvT2_PKT0_PKT1_PKS3_21rocsparse_index_base_S3_PS3_PS4_SC_,"axG",@progbits,_ZN9rocsparseL14csr2ell_kernelILj512E21rocsparse_complex_numIfEilEEvT2_PKT0_PKT1_PKS3_21rocsparse_index_base_S3_PS3_PS4_SC_,comdat
.Lfunc_end14:
	.size	_ZN9rocsparseL14csr2ell_kernelILj512E21rocsparse_complex_numIfEilEEvT2_PKT0_PKT1_PKS3_21rocsparse_index_base_S3_PS3_PS4_SC_, .Lfunc_end14-_ZN9rocsparseL14csr2ell_kernelILj512E21rocsparse_complex_numIfEilEEvT2_PKT0_PKT1_PKS3_21rocsparse_index_base_S3_PS3_PS4_SC_
                                        ; -- End function
	.section	.AMDGPU.csdata,"",@progbits
; Kernel info:
; codeLenInByte = 512
; NumSgprs: 27
; NumVgprs: 20
; NumAgprs: 0
; TotalNumVgprs: 20
; ScratchSize: 0
; MemoryBound: 0
; FloatMode: 240
; IeeeMode: 1
; LDSByteSize: 0 bytes/workgroup (compile time only)
; SGPRBlocks: 3
; VGPRBlocks: 2
; NumSGPRsForWavesPerEU: 27
; NumVGPRsForWavesPerEU: 20
; AccumOffset: 20
; Occupancy: 8
; WaveLimiterHint : 0
; COMPUTE_PGM_RSRC2:SCRATCH_EN: 0
; COMPUTE_PGM_RSRC2:USER_SGPR: 6
; COMPUTE_PGM_RSRC2:TRAP_HANDLER: 0
; COMPUTE_PGM_RSRC2:TGID_X_EN: 1
; COMPUTE_PGM_RSRC2:TGID_Y_EN: 0
; COMPUTE_PGM_RSRC2:TGID_Z_EN: 0
; COMPUTE_PGM_RSRC2:TIDIG_COMP_CNT: 0
; COMPUTE_PGM_RSRC3_GFX90A:ACCUM_OFFSET: 4
; COMPUTE_PGM_RSRC3_GFX90A:TG_SPLIT: 0
	.section	.text._ZN9rocsparseL14csr2ell_kernelILj512E21rocsparse_complex_numIfEllEEvT2_PKT0_PKT1_PKS3_21rocsparse_index_base_S3_PS3_PS4_SC_,"axG",@progbits,_ZN9rocsparseL14csr2ell_kernelILj512E21rocsparse_complex_numIfEllEEvT2_PKT0_PKT1_PKS3_21rocsparse_index_base_S3_PS3_PS4_SC_,comdat
	.globl	_ZN9rocsparseL14csr2ell_kernelILj512E21rocsparse_complex_numIfEllEEvT2_PKT0_PKT1_PKS3_21rocsparse_index_base_S3_PS3_PS4_SC_ ; -- Begin function _ZN9rocsparseL14csr2ell_kernelILj512E21rocsparse_complex_numIfEllEEvT2_PKT0_PKT1_PKS3_21rocsparse_index_base_S3_PS3_PS4_SC_
	.p2align	8
	.type	_ZN9rocsparseL14csr2ell_kernelILj512E21rocsparse_complex_numIfEllEEvT2_PKT0_PKT1_PKS3_21rocsparse_index_base_S3_PS3_PS4_SC_,@function
_ZN9rocsparseL14csr2ell_kernelILj512E21rocsparse_complex_numIfEllEEvT2_PKT0_PKT1_PKS3_21rocsparse_index_base_S3_PS3_PS4_SC_: ; @_ZN9rocsparseL14csr2ell_kernelILj512E21rocsparse_complex_numIfEllEEvT2_PKT0_PKT1_PKS3_21rocsparse_index_base_S3_PS3_PS4_SC_
; %bb.0:
	s_load_dwordx8 s[8:15], s[4:5], 0x0
	v_lshl_or_b32 v6, s6, 9, v0
	v_mov_b32_e32 v7, 0
	s_waitcnt lgkmcnt(0)
	v_cmp_gt_i64_e32 vcc, s[8:9], v[6:7]
	s_and_saveexec_b64 s[0:1], vcc
	s_cbranch_execz .LBB15_7
; %bb.1:
	v_lshlrev_b64 v[4:5], 3, v[6:7]
	v_mov_b32_e32 v1, s13
	v_add_co_u32_e32 v0, vcc, s12, v4
	v_addc_co_u32_e32 v1, vcc, v1, v5, vcc
	global_load_dwordx4 v[0:3], v[0:1], off
	s_load_dword s0, s[4:5], 0x20
	s_load_dwordx4 s[16:19], s[4:5], 0x28
	s_load_dwordx2 s[6:7], s[4:5], 0x38
	s_mov_b64 s[12:13], 0
	s_waitcnt lgkmcnt(0)
	v_cmp_gt_i64_e64 s[2:3], s[16:17], 0
	s_waitcnt vmcnt(0)
	v_subrev_co_u32_e32 v8, vcc, s0, v0
	v_subbrev_co_u32_e32 v14, vcc, 0, v1, vcc
	v_subrev_co_u32_e32 v2, vcc, s0, v2
	v_subbrev_co_u32_e32 v3, vcc, 0, v3, vcc
	v_ashrrev_i32_e32 v9, 31, v8
	v_cmp_gt_i64_e32 vcc, v[2:3], v[8:9]
	s_and_b64 s[2:3], s[2:3], vcc
	s_and_saveexec_b64 s[20:21], s[2:3]
	s_cbranch_execz .LBB15_4
; %bb.2:
	s_load_dword s1, s[4:5], 0x40
	v_subrev_u32_e32 v0, s0, v0
	v_add_u32_e32 v0, 1, v0
	s_mov_b64 s[4:5], 1
	v_ashrrev_i32_e32 v1, 31, v0
	s_waitcnt lgkmcnt(0)
	s_sub_u32 s22, s1, s0
	s_subb_u32 s0, 0, 0
	v_mov_b32_e32 v15, s15
	v_mov_b32_e32 v16, s0
	v_mov_b32_e32 v17, s19
	v_mov_b32_e32 v18, s11
	v_mov_b32_e32 v19, s7
	v_pk_mov_b32 v[10:11], s[16:17], s[16:17] op_sel:[0,1]
	v_pk_mov_b32 v[12:13], v[8:9], v[8:9] op_sel:[0,1]
	v_mov_b32_e32 v9, v8
.LBB15_3:                               ; =>This Inner Loop Header: Depth=1
	v_lshlrev_b64 v[12:13], 3, v[12:13]
	v_add_co_u32_e32 v20, vcc, s14, v12
	v_addc_co_u32_e32 v21, vcc, v15, v13, vcc
	global_load_dwordx2 v[20:21], v[20:21], off
	v_ashrrev_i32_e32 v7, 31, v6
	v_add_co_u32_e32 v12, vcc, s10, v12
	v_lshlrev_b64 v[22:23], 3, v[6:7]
	v_addc_co_u32_e32 v13, vcc, v18, v13, vcc
	v_add_co_u32_e32 v24, vcc, s18, v22
	v_addc_co_u32_e32 v25, vcc, v17, v23, vcc
	v_mov_b32_e32 v7, s5
	v_add_co_u32_e64 v22, s[2:3], s6, v22
	v_add_u32_e32 v6, s8, v6
	v_addc_co_u32_e64 v23, s[2:3], v19, v23, s[2:3]
	s_waitcnt vmcnt(0)
	v_add_co_u32_e32 v20, vcc, s22, v20
	v_addc_co_u32_e32 v21, vcc, v16, v21, vcc
	global_store_dwordx2 v[24:25], v[20:21], off
	global_load_dwordx2 v[20:21], v[12:13], off
	v_add_u32_e32 v12, 1, v9
	v_add_co_u32_e64 v9, s[0:1], s4, v0
	v_addc_co_u32_e64 v7, s[0:1], v1, v7, s[0:1]
	v_add_co_u32_e64 v24, s[0:1], -1, v9
	v_addc_co_u32_e64 v25, s[0:1], -1, v7, s[0:1]
	v_cmp_ge_i64_e32 vcc, s[4:5], v[10:11]
	v_cmp_le_i64_e64 s[0:1], v[2:3], v[24:25]
	s_or_b64 s[0:1], s[0:1], vcc
	s_add_u32 s4, s4, 1
	s_addc_u32 s5, s5, 0
	s_and_b64 s[0:1], exec, s[0:1]
	v_ashrrev_i32_e32 v13, 31, v12
	v_mov_b32_e32 v9, v12
	s_or_b64 s[12:13], s[0:1], s[12:13]
	s_waitcnt vmcnt(0)
	global_store_dwordx2 v[22:23], v[20:21], off
	s_andn2_b64 exec, exec, s[12:13]
	s_cbranch_execnz .LBB15_3
.LBB15_4:
	s_or_b64 exec, exec, s[20:21]
	v_sub_co_u32_e32 v0, vcc, v2, v8
	v_subb_co_u32_e32 v1, vcc, v3, v14, vcc
	v_cmp_gt_i64_e32 vcc, s[16:17], v[0:1]
	s_and_b64 exec, exec, vcc
	s_cbranch_execz .LBB15_7
; %bb.5:
	v_mul_lo_u32 v6, s9, v0
	v_mul_lo_u32 v7, s8, v1
	v_mad_u64_u32 v[2:3], s[0:1], s8, v0, 0
	v_add3_u32 v3, v3, v7, v6
	v_lshlrev_b64 v[2:3], 3, v[2:3]
	v_add_co_u32_e32 v2, vcc, v2, v4
	s_lshl_b64 s[0:1], s[8:9], 3
	v_mov_b32_e32 v4, -1
	v_mov_b32_e32 v6, 0
	v_addc_co_u32_e32 v3, vcc, v3, v5, vcc
	s_mov_b64 s[2:3], 0
	v_mov_b32_e32 v8, s19
	v_mov_b32_e32 v5, v4
	;; [unrolled: 1-line block ×5, first 2 shown]
.LBB15_6:                               ; =>This Inner Loop Header: Depth=1
	v_add_co_u32_e32 v12, vcc, s18, v2
	v_addc_co_u32_e32 v13, vcc, v8, v3, vcc
	v_add_co_u32_e32 v14, vcc, s6, v2
	v_addc_co_u32_e32 v15, vcc, v9, v3, vcc
	v_add_co_u32_e32 v0, vcc, 1, v0
	v_addc_co_u32_e32 v1, vcc, 0, v1, vcc
	v_add_co_u32_e32 v2, vcc, s0, v2
	v_addc_co_u32_e32 v3, vcc, v3, v10, vcc
	v_cmp_le_i64_e32 vcc, s[16:17], v[0:1]
	s_or_b64 s[2:3], vcc, s[2:3]
	global_store_dwordx2 v[12:13], v[4:5], off
	global_store_dwordx2 v[14:15], v[6:7], off
	s_andn2_b64 exec, exec, s[2:3]
	s_cbranch_execnz .LBB15_6
.LBB15_7:
	s_endpgm
	.section	.rodata,"a",@progbits
	.p2align	6, 0x0
	.amdhsa_kernel _ZN9rocsparseL14csr2ell_kernelILj512E21rocsparse_complex_numIfEllEEvT2_PKT0_PKT1_PKS3_21rocsparse_index_base_S3_PS3_PS4_SC_
		.amdhsa_group_segment_fixed_size 0
		.amdhsa_private_segment_fixed_size 0
		.amdhsa_kernarg_size 68
		.amdhsa_user_sgpr_count 6
		.amdhsa_user_sgpr_private_segment_buffer 1
		.amdhsa_user_sgpr_dispatch_ptr 0
		.amdhsa_user_sgpr_queue_ptr 0
		.amdhsa_user_sgpr_kernarg_segment_ptr 1
		.amdhsa_user_sgpr_dispatch_id 0
		.amdhsa_user_sgpr_flat_scratch_init 0
		.amdhsa_user_sgpr_kernarg_preload_length 0
		.amdhsa_user_sgpr_kernarg_preload_offset 0
		.amdhsa_user_sgpr_private_segment_size 0
		.amdhsa_uses_dynamic_stack 0
		.amdhsa_system_sgpr_private_segment_wavefront_offset 0
		.amdhsa_system_sgpr_workgroup_id_x 1
		.amdhsa_system_sgpr_workgroup_id_y 0
		.amdhsa_system_sgpr_workgroup_id_z 0
		.amdhsa_system_sgpr_workgroup_info 0
		.amdhsa_system_vgpr_workitem_id 0
		.amdhsa_next_free_vgpr 26
		.amdhsa_next_free_sgpr 23
		.amdhsa_accum_offset 28
		.amdhsa_reserve_vcc 1
		.amdhsa_reserve_flat_scratch 0
		.amdhsa_float_round_mode_32 0
		.amdhsa_float_round_mode_16_64 0
		.amdhsa_float_denorm_mode_32 3
		.amdhsa_float_denorm_mode_16_64 3
		.amdhsa_dx10_clamp 1
		.amdhsa_ieee_mode 1
		.amdhsa_fp16_overflow 0
		.amdhsa_tg_split 0
		.amdhsa_exception_fp_ieee_invalid_op 0
		.amdhsa_exception_fp_denorm_src 0
		.amdhsa_exception_fp_ieee_div_zero 0
		.amdhsa_exception_fp_ieee_overflow 0
		.amdhsa_exception_fp_ieee_underflow 0
		.amdhsa_exception_fp_ieee_inexact 0
		.amdhsa_exception_int_div_zero 0
	.end_amdhsa_kernel
	.section	.text._ZN9rocsparseL14csr2ell_kernelILj512E21rocsparse_complex_numIfEllEEvT2_PKT0_PKT1_PKS3_21rocsparse_index_base_S3_PS3_PS4_SC_,"axG",@progbits,_ZN9rocsparseL14csr2ell_kernelILj512E21rocsparse_complex_numIfEllEEvT2_PKT0_PKT1_PKS3_21rocsparse_index_base_S3_PS3_PS4_SC_,comdat
.Lfunc_end15:
	.size	_ZN9rocsparseL14csr2ell_kernelILj512E21rocsparse_complex_numIfEllEEvT2_PKT0_PKT1_PKS3_21rocsparse_index_base_S3_PS3_PS4_SC_, .Lfunc_end15-_ZN9rocsparseL14csr2ell_kernelILj512E21rocsparse_complex_numIfEllEEvT2_PKT0_PKT1_PKS3_21rocsparse_index_base_S3_PS3_PS4_SC_
                                        ; -- End function
	.section	.AMDGPU.csdata,"",@progbits
; Kernel info:
; codeLenInByte = 596
; NumSgprs: 27
; NumVgprs: 26
; NumAgprs: 0
; TotalNumVgprs: 26
; ScratchSize: 0
; MemoryBound: 0
; FloatMode: 240
; IeeeMode: 1
; LDSByteSize: 0 bytes/workgroup (compile time only)
; SGPRBlocks: 3
; VGPRBlocks: 3
; NumSGPRsForWavesPerEU: 27
; NumVGPRsForWavesPerEU: 26
; AccumOffset: 28
; Occupancy: 8
; WaveLimiterHint : 0
; COMPUTE_PGM_RSRC2:SCRATCH_EN: 0
; COMPUTE_PGM_RSRC2:USER_SGPR: 6
; COMPUTE_PGM_RSRC2:TRAP_HANDLER: 0
; COMPUTE_PGM_RSRC2:TGID_X_EN: 1
; COMPUTE_PGM_RSRC2:TGID_Y_EN: 0
; COMPUTE_PGM_RSRC2:TGID_Z_EN: 0
; COMPUTE_PGM_RSRC2:TIDIG_COMP_CNT: 0
; COMPUTE_PGM_RSRC3_GFX90A:ACCUM_OFFSET: 6
; COMPUTE_PGM_RSRC3_GFX90A:TG_SPLIT: 0
	.section	.text._ZN9rocsparseL14csr2ell_kernelILj512E21rocsparse_complex_numIdEiiEEvT2_PKT0_PKT1_PKS3_21rocsparse_index_base_S3_PS3_PS4_SC_,"axG",@progbits,_ZN9rocsparseL14csr2ell_kernelILj512E21rocsparse_complex_numIdEiiEEvT2_PKT0_PKT1_PKS3_21rocsparse_index_base_S3_PS3_PS4_SC_,comdat
	.globl	_ZN9rocsparseL14csr2ell_kernelILj512E21rocsparse_complex_numIdEiiEEvT2_PKT0_PKT1_PKS3_21rocsparse_index_base_S3_PS3_PS4_SC_ ; -- Begin function _ZN9rocsparseL14csr2ell_kernelILj512E21rocsparse_complex_numIdEiiEEvT2_PKT0_PKT1_PKS3_21rocsparse_index_base_S3_PS3_PS4_SC_
	.p2align	8
	.type	_ZN9rocsparseL14csr2ell_kernelILj512E21rocsparse_complex_numIdEiiEEvT2_PKT0_PKT1_PKS3_21rocsparse_index_base_S3_PS3_PS4_SC_,@function
_ZN9rocsparseL14csr2ell_kernelILj512E21rocsparse_complex_numIdEiiEEvT2_PKT0_PKT1_PKS3_21rocsparse_index_base_S3_PS3_PS4_SC_: ; @_ZN9rocsparseL14csr2ell_kernelILj512E21rocsparse_complex_numIdEiiEEvT2_PKT0_PKT1_PKS3_21rocsparse_index_base_S3_PS3_PS4_SC_
; %bb.0:
	s_load_dword s12, s[4:5], 0x0
	s_lshl_b32 s13, s6, 9
	v_or_b32_e32 v2, s13, v0
	s_waitcnt lgkmcnt(0)
	v_cmp_gt_i32_e32 vcc, s12, v2
	s_and_saveexec_b64 s[0:1], vcc
	s_cbranch_execz .LBB16_7
; %bb.1:
	s_load_dwordx4 s[0:3], s[4:5], 0x8
	s_load_dwordx2 s[6:7], s[4:5], 0x20
	v_ashrrev_i32_e32 v3, 31, v2
	v_lshlrev_b64 v[4:5], 2, v[2:3]
	s_load_dwordx4 s[8:11], s[4:5], 0x28
	s_waitcnt lgkmcnt(0)
	v_mov_b32_e32 v1, s3
	v_add_co_u32_e32 v4, vcc, s2, v4
	v_addc_co_u32_e32 v5, vcc, v1, v5, vcc
	global_load_dwordx2 v[6:7], v[4:5], off
	s_cmp_gt_i32 s7, 0
	s_cselect_b64 s[2:3], -1, 0
	s_waitcnt vmcnt(0)
	v_cmp_lt_i32_e32 vcc, v6, v7
	v_subrev_u32_e32 v4, s6, v6
	v_subrev_u32_e32 v1, s6, v7
	s_and_b64 s[14:15], s[2:3], vcc
	s_and_saveexec_b64 s[2:3], s[14:15]
	s_cbranch_execz .LBB16_4
; %bb.2:
	s_load_dword s16, s[4:5], 0x38
	s_load_dwordx2 s[14:15], s[4:5], 0x18
	v_ashrrev_i32_e32 v5, 31, v4
	v_lshlrev_b64 v[6:7], 2, v[4:5]
	v_lshlrev_b64 v[8:9], 4, v[4:5]
	s_waitcnt lgkmcnt(0)
	s_sub_i32 s6, s16, s6
	v_mov_b32_e32 v3, s15
	v_add_co_u32_e32 v6, vcc, s14, v6
	v_addc_co_u32_e32 v7, vcc, v3, v7, vcc
	v_mov_b32_e32 v3, s1
	v_add_co_u32_e32 v8, vcc, s0, v8
	v_addc_co_u32_e32 v9, vcc, v3, v9, vcc
	s_mov_b32 s14, 1
	s_mov_b64 s[4:5], 0
	v_mov_b32_e32 v5, s9
	v_mov_b32_e32 v10, s11
.LBB16_3:                               ; =>This Inner Loop Header: Depth=1
	global_load_dword v11, v[6:7], off
	v_ashrrev_i32_e32 v3, 31, v2
	v_lshlrev_b64 v[12:13], 2, v[2:3]
	v_add_co_u32_e32 v12, vcc, s8, v12
	v_addc_co_u32_e32 v13, vcc, v5, v13, vcc
	v_add_co_u32_e32 v6, vcc, 4, v6
	v_lshlrev_b64 v[16:17], 4, v[2:3]
	s_cmp_ge_i32 s14, s7
	v_addc_co_u32_e32 v7, vcc, 0, v7, vcc
	v_add_co_u32_e64 v16, s[0:1], s10, v16
	s_cselect_b64 s[16:17], -1, 0
	v_addc_co_u32_e64 v17, s[0:1], v10, v17, s[0:1]
	v_add_u32_e32 v2, s12, v2
	s_waitcnt vmcnt(0)
	v_add_u32_e32 v11, s6, v11
	global_store_dword v[12:13], v11, off
	global_load_dwordx4 v[12:15], v[8:9], off
	v_add_u32_e32 v11, s14, v4
	v_cmp_ge_i32_e32 vcc, v11, v1
	s_add_i32 s14, s14, 1
	s_or_b64 s[0:1], vcc, s[16:17]
	s_and_b64 s[0:1], exec, s[0:1]
	v_add_co_u32_e32 v8, vcc, 16, v8
	s_or_b64 s[4:5], s[0:1], s[4:5]
	v_addc_co_u32_e32 v9, vcc, 0, v9, vcc
	s_waitcnt vmcnt(0)
	global_store_dwordx4 v[16:17], v[12:15], off
	s_andn2_b64 exec, exec, s[4:5]
	s_cbranch_execnz .LBB16_3
.LBB16_4:
	s_or_b64 exec, exec, s[2:3]
	v_sub_u32_e32 v6, v1, v4
	v_cmp_gt_i32_e32 vcc, s7, v6
	s_and_b64 exec, exec, vcc
	s_cbranch_execz .LBB16_7
; %bb.5:
	v_mul_lo_u32 v1, s12, v6
	v_add3_u32 v4, v0, v1, s13
	v_mov_b32_e32 v0, 0
	s_mov_b64 s[0:1], 0
	v_mov_b32_e32 v7, s9
	v_mov_b32_e32 v8, -1
	v_mov_b32_e32 v9, s11
	v_mov_b32_e32 v1, v0
	;; [unrolled: 1-line block ×4, first 2 shown]
.LBB16_6:                               ; =>This Inner Loop Header: Depth=1
	v_ashrrev_i32_e32 v5, 31, v4
	v_lshlrev_b64 v[10:11], 2, v[4:5]
	v_add_co_u32_e32 v10, vcc, s8, v10
	v_addc_co_u32_e32 v11, vcc, v7, v11, vcc
	global_store_dword v[10:11], v8, off
	v_lshlrev_b64 v[10:11], 4, v[4:5]
	v_add_co_u32_e32 v10, vcc, s10, v10
	v_addc_co_u32_e32 v11, vcc, v9, v11, vcc
	v_add_u32_e32 v6, 1, v6
	v_cmp_le_i32_e32 vcc, s7, v6
	s_or_b64 s[0:1], vcc, s[0:1]
	v_add_u32_e32 v4, s12, v4
	global_store_dwordx4 v[10:11], v[0:3], off
	s_andn2_b64 exec, exec, s[0:1]
	s_cbranch_execnz .LBB16_6
.LBB16_7:
	s_endpgm
	.section	.rodata,"a",@progbits
	.p2align	6, 0x0
	.amdhsa_kernel _ZN9rocsparseL14csr2ell_kernelILj512E21rocsparse_complex_numIdEiiEEvT2_PKT0_PKT1_PKS3_21rocsparse_index_base_S3_PS3_PS4_SC_
		.amdhsa_group_segment_fixed_size 0
		.amdhsa_private_segment_fixed_size 0
		.amdhsa_kernarg_size 60
		.amdhsa_user_sgpr_count 6
		.amdhsa_user_sgpr_private_segment_buffer 1
		.amdhsa_user_sgpr_dispatch_ptr 0
		.amdhsa_user_sgpr_queue_ptr 0
		.amdhsa_user_sgpr_kernarg_segment_ptr 1
		.amdhsa_user_sgpr_dispatch_id 0
		.amdhsa_user_sgpr_flat_scratch_init 0
		.amdhsa_user_sgpr_kernarg_preload_length 0
		.amdhsa_user_sgpr_kernarg_preload_offset 0
		.amdhsa_user_sgpr_private_segment_size 0
		.amdhsa_uses_dynamic_stack 0
		.amdhsa_system_sgpr_private_segment_wavefront_offset 0
		.amdhsa_system_sgpr_workgroup_id_x 1
		.amdhsa_system_sgpr_workgroup_id_y 0
		.amdhsa_system_sgpr_workgroup_id_z 0
		.amdhsa_system_sgpr_workgroup_info 0
		.amdhsa_system_vgpr_workitem_id 0
		.amdhsa_next_free_vgpr 18
		.amdhsa_next_free_sgpr 18
		.amdhsa_accum_offset 20
		.amdhsa_reserve_vcc 1
		.amdhsa_reserve_flat_scratch 0
		.amdhsa_float_round_mode_32 0
		.amdhsa_float_round_mode_16_64 0
		.amdhsa_float_denorm_mode_32 3
		.amdhsa_float_denorm_mode_16_64 3
		.amdhsa_dx10_clamp 1
		.amdhsa_ieee_mode 1
		.amdhsa_fp16_overflow 0
		.amdhsa_tg_split 0
		.amdhsa_exception_fp_ieee_invalid_op 0
		.amdhsa_exception_fp_denorm_src 0
		.amdhsa_exception_fp_ieee_div_zero 0
		.amdhsa_exception_fp_ieee_overflow 0
		.amdhsa_exception_fp_ieee_underflow 0
		.amdhsa_exception_fp_ieee_inexact 0
		.amdhsa_exception_int_div_zero 0
	.end_amdhsa_kernel
	.section	.text._ZN9rocsparseL14csr2ell_kernelILj512E21rocsparse_complex_numIdEiiEEvT2_PKT0_PKT1_PKS3_21rocsparse_index_base_S3_PS3_PS4_SC_,"axG",@progbits,_ZN9rocsparseL14csr2ell_kernelILj512E21rocsparse_complex_numIdEiiEEvT2_PKT0_PKT1_PKS3_21rocsparse_index_base_S3_PS3_PS4_SC_,comdat
.Lfunc_end16:
	.size	_ZN9rocsparseL14csr2ell_kernelILj512E21rocsparse_complex_numIdEiiEEvT2_PKT0_PKT1_PKS3_21rocsparse_index_base_S3_PS3_PS4_SC_, .Lfunc_end16-_ZN9rocsparseL14csr2ell_kernelILj512E21rocsparse_complex_numIdEiiEEvT2_PKT0_PKT1_PKS3_21rocsparse_index_base_S3_PS3_PS4_SC_
                                        ; -- End function
	.section	.AMDGPU.csdata,"",@progbits
; Kernel info:
; codeLenInByte = 508
; NumSgprs: 22
; NumVgprs: 18
; NumAgprs: 0
; TotalNumVgprs: 18
; ScratchSize: 0
; MemoryBound: 0
; FloatMode: 240
; IeeeMode: 1
; LDSByteSize: 0 bytes/workgroup (compile time only)
; SGPRBlocks: 2
; VGPRBlocks: 2
; NumSGPRsForWavesPerEU: 22
; NumVGPRsForWavesPerEU: 18
; AccumOffset: 20
; Occupancy: 8
; WaveLimiterHint : 0
; COMPUTE_PGM_RSRC2:SCRATCH_EN: 0
; COMPUTE_PGM_RSRC2:USER_SGPR: 6
; COMPUTE_PGM_RSRC2:TRAP_HANDLER: 0
; COMPUTE_PGM_RSRC2:TGID_X_EN: 1
; COMPUTE_PGM_RSRC2:TGID_Y_EN: 0
; COMPUTE_PGM_RSRC2:TGID_Z_EN: 0
; COMPUTE_PGM_RSRC2:TIDIG_COMP_CNT: 0
; COMPUTE_PGM_RSRC3_GFX90A:ACCUM_OFFSET: 4
; COMPUTE_PGM_RSRC3_GFX90A:TG_SPLIT: 0
	.section	.text._ZN9rocsparseL14csr2ell_kernelILj512E21rocsparse_complex_numIdEliEEvT2_PKT0_PKT1_PKS3_21rocsparse_index_base_S3_PS3_PS4_SC_,"axG",@progbits,_ZN9rocsparseL14csr2ell_kernelILj512E21rocsparse_complex_numIdEliEEvT2_PKT0_PKT1_PKS3_21rocsparse_index_base_S3_PS3_PS4_SC_,comdat
	.globl	_ZN9rocsparseL14csr2ell_kernelILj512E21rocsparse_complex_numIdEliEEvT2_PKT0_PKT1_PKS3_21rocsparse_index_base_S3_PS3_PS4_SC_ ; -- Begin function _ZN9rocsparseL14csr2ell_kernelILj512E21rocsparse_complex_numIdEliEEvT2_PKT0_PKT1_PKS3_21rocsparse_index_base_S3_PS3_PS4_SC_
	.p2align	8
	.type	_ZN9rocsparseL14csr2ell_kernelILj512E21rocsparse_complex_numIdEliEEvT2_PKT0_PKT1_PKS3_21rocsparse_index_base_S3_PS3_PS4_SC_,@function
_ZN9rocsparseL14csr2ell_kernelILj512E21rocsparse_complex_numIdEliEEvT2_PKT0_PKT1_PKS3_21rocsparse_index_base_S3_PS3_PS4_SC_: ; @_ZN9rocsparseL14csr2ell_kernelILj512E21rocsparse_complex_numIdEliEEvT2_PKT0_PKT1_PKS3_21rocsparse_index_base_S3_PS3_PS4_SC_
; %bb.0:
	s_load_dword s16, s[4:5], 0x0
	s_lshl_b32 s17, s6, 9
	v_or_b32_e32 v6, s17, v0
	s_waitcnt lgkmcnt(0)
	v_cmp_gt_i32_e32 vcc, s16, v6
	s_and_saveexec_b64 s[0:1], vcc
	s_cbranch_execz .LBB17_7
; %bb.1:
	s_load_dwordx4 s[8:11], s[4:5], 0x8
	s_load_dwordx2 s[6:7], s[4:5], 0x20
	v_ashrrev_i32_e32 v7, 31, v6
	v_lshlrev_b64 v[2:3], 3, v[6:7]
	s_load_dwordx4 s[0:3], s[4:5], 0x28
	s_waitcnt lgkmcnt(0)
	v_mov_b32_e32 v1, s11
	v_add_co_u32_e32 v2, vcc, s10, v2
	v_addc_co_u32_e32 v3, vcc, v1, v3, vcc
	global_load_dwordx4 v[2:5], v[2:3], off
	s_cmp_gt_i32 s7, 0
	s_cselect_b64 s[10:11], -1, 0
	s_waitcnt vmcnt(0)
	v_subrev_co_u32_e32 v8, vcc, s6, v2
	v_subrev_co_u32_e32 v4, vcc, s6, v4
	v_subbrev_co_u32_e32 v5, vcc, 0, v5, vcc
	v_ashrrev_i32_e32 v9, 31, v8
	v_cmp_gt_i64_e32 vcc, v[4:5], v[8:9]
	s_and_b64 s[12:13], s[10:11], vcc
	s_and_saveexec_b64 s[10:11], s[12:13]
	s_cbranch_execz .LBB17_4
; %bb.2:
	s_load_dword s14, s[4:5], 0x38
	s_load_dwordx2 s[12:13], s[4:5], 0x18
	v_subrev_u32_e32 v1, s6, v2
	v_add_u32_e32 v2, 1, v1
	v_ashrrev_i32_e32 v1, 31, v2
	s_waitcnt lgkmcnt(0)
	s_sub_i32 s6, s14, s6
	s_mov_b64 s[4:5], 0
	v_mov_b32_e32 v3, s13
	v_mov_b32_e32 v12, s1
	;; [unrolled: 1-line block ×4, first 2 shown]
	s_mov_b64 s[14:15], 0
	v_pk_mov_b32 v[10:11], v[8:9], v[8:9] op_sel:[0,1]
	v_mov_b32_e32 v9, v8
.LBB17_3:                               ; =>This Inner Loop Header: Depth=1
	v_lshlrev_b64 v[16:17], 2, v[10:11]
	v_add_co_u32_e32 v16, vcc, s12, v16
	v_addc_co_u32_e32 v17, vcc, v3, v17, vcc
	global_load_dword v15, v[16:17], off
	v_lshlrev_b64 v[10:11], 4, v[10:11]
	v_ashrrev_i32_e32 v7, 31, v6
	v_add_co_u32_e32 v10, vcc, s8, v10
	v_lshlrev_b64 v[16:17], 2, v[6:7]
	v_addc_co_u32_e32 v11, vcc, v13, v11, vcc
	v_add_co_u32_e32 v16, vcc, s0, v16
	v_addc_co_u32_e32 v17, vcc, v12, v17, vcc
	v_add_co_u32_e32 v20, vcc, s14, v2
	s_add_u32 s18, s14, 1
	v_lshlrev_b64 v[22:23], 4, v[6:7]
	s_addc_u32 s19, s15, 0
	s_cmp_ge_i32 s18, s7
	v_add_u32_e32 v6, s16, v6
	s_waitcnt vmcnt(0)
	v_add_u32_e32 v15, s6, v15
	global_store_dword v[16:17], v15, off
	global_load_dwordx4 v[16:19], v[10:11], off
	v_add_u32_e32 v10, 1, v9
	v_mov_b32_e32 v9, s15
	v_addc_co_u32_e32 v21, vcc, v1, v9, vcc
	v_add_co_u32_e32 v22, vcc, s2, v22
	v_addc_co_u32_e32 v23, vcc, v14, v23, vcc
	v_cmp_le_i64_e32 vcc, v[4:5], v[20:21]
	s_mov_b64 s[14:15], s[18:19]
	s_cselect_b64 s[18:19], -1, 0
	s_or_b64 s[18:19], vcc, s[18:19]
	s_and_b64 s[18:19], exec, s[18:19]
	v_ashrrev_i32_e32 v11, 31, v10
	v_mov_b32_e32 v9, v10
	s_or_b64 s[4:5], s[18:19], s[4:5]
	s_waitcnt vmcnt(0)
	global_store_dwordx4 v[22:23], v[16:19], off
	s_andn2_b64 exec, exec, s[4:5]
	s_cbranch_execnz .LBB17_3
.LBB17_4:
	s_or_b64 exec, exec, s[10:11]
	v_sub_u32_e32 v6, v4, v8
	v_cmp_gt_i32_e32 vcc, s7, v6
	s_and_b64 exec, exec, vcc
	s_cbranch_execz .LBB17_7
; %bb.5:
	v_mul_lo_u32 v1, s16, v6
	v_add3_u32 v4, v0, v1, s17
	v_mov_b32_e32 v0, 0
	s_mov_b64 s[4:5], 0
	v_mov_b32_e32 v7, s1
	v_mov_b32_e32 v8, -1
	v_mov_b32_e32 v9, s3
	v_mov_b32_e32 v1, v0
	;; [unrolled: 1-line block ×4, first 2 shown]
.LBB17_6:                               ; =>This Inner Loop Header: Depth=1
	v_ashrrev_i32_e32 v5, 31, v4
	v_lshlrev_b64 v[10:11], 2, v[4:5]
	v_add_co_u32_e32 v10, vcc, s0, v10
	v_addc_co_u32_e32 v11, vcc, v7, v11, vcc
	global_store_dword v[10:11], v8, off
	v_lshlrev_b64 v[10:11], 4, v[4:5]
	v_add_co_u32_e32 v10, vcc, s2, v10
	v_addc_co_u32_e32 v11, vcc, v9, v11, vcc
	v_add_u32_e32 v6, 1, v6
	v_cmp_le_i32_e32 vcc, s7, v6
	s_or_b64 s[4:5], vcc, s[4:5]
	v_add_u32_e32 v4, s16, v4
	global_store_dwordx4 v[10:11], v[0:3], off
	s_andn2_b64 exec, exec, s[4:5]
	s_cbranch_execnz .LBB17_6
.LBB17_7:
	s_endpgm
	.section	.rodata,"a",@progbits
	.p2align	6, 0x0
	.amdhsa_kernel _ZN9rocsparseL14csr2ell_kernelILj512E21rocsparse_complex_numIdEliEEvT2_PKT0_PKT1_PKS3_21rocsparse_index_base_S3_PS3_PS4_SC_
		.amdhsa_group_segment_fixed_size 0
		.amdhsa_private_segment_fixed_size 0
		.amdhsa_kernarg_size 60
		.amdhsa_user_sgpr_count 6
		.amdhsa_user_sgpr_private_segment_buffer 1
		.amdhsa_user_sgpr_dispatch_ptr 0
		.amdhsa_user_sgpr_queue_ptr 0
		.amdhsa_user_sgpr_kernarg_segment_ptr 1
		.amdhsa_user_sgpr_dispatch_id 0
		.amdhsa_user_sgpr_flat_scratch_init 0
		.amdhsa_user_sgpr_kernarg_preload_length 0
		.amdhsa_user_sgpr_kernarg_preload_offset 0
		.amdhsa_user_sgpr_private_segment_size 0
		.amdhsa_uses_dynamic_stack 0
		.amdhsa_system_sgpr_private_segment_wavefront_offset 0
		.amdhsa_system_sgpr_workgroup_id_x 1
		.amdhsa_system_sgpr_workgroup_id_y 0
		.amdhsa_system_sgpr_workgroup_id_z 0
		.amdhsa_system_sgpr_workgroup_info 0
		.amdhsa_system_vgpr_workitem_id 0
		.amdhsa_next_free_vgpr 24
		.amdhsa_next_free_sgpr 20
		.amdhsa_accum_offset 24
		.amdhsa_reserve_vcc 1
		.amdhsa_reserve_flat_scratch 0
		.amdhsa_float_round_mode_32 0
		.amdhsa_float_round_mode_16_64 0
		.amdhsa_float_denorm_mode_32 3
		.amdhsa_float_denorm_mode_16_64 3
		.amdhsa_dx10_clamp 1
		.amdhsa_ieee_mode 1
		.amdhsa_fp16_overflow 0
		.amdhsa_tg_split 0
		.amdhsa_exception_fp_ieee_invalid_op 0
		.amdhsa_exception_fp_denorm_src 0
		.amdhsa_exception_fp_ieee_div_zero 0
		.amdhsa_exception_fp_ieee_overflow 0
		.amdhsa_exception_fp_ieee_underflow 0
		.amdhsa_exception_fp_ieee_inexact 0
		.amdhsa_exception_int_div_zero 0
	.end_amdhsa_kernel
	.section	.text._ZN9rocsparseL14csr2ell_kernelILj512E21rocsparse_complex_numIdEliEEvT2_PKT0_PKT1_PKS3_21rocsparse_index_base_S3_PS3_PS4_SC_,"axG",@progbits,_ZN9rocsparseL14csr2ell_kernelILj512E21rocsparse_complex_numIdEliEEvT2_PKT0_PKT1_PKS3_21rocsparse_index_base_S3_PS3_PS4_SC_,comdat
.Lfunc_end17:
	.size	_ZN9rocsparseL14csr2ell_kernelILj512E21rocsparse_complex_numIdEliEEvT2_PKT0_PKT1_PKS3_21rocsparse_index_base_S3_PS3_PS4_SC_, .Lfunc_end17-_ZN9rocsparseL14csr2ell_kernelILj512E21rocsparse_complex_numIdEliEEvT2_PKT0_PKT1_PKS3_21rocsparse_index_base_S3_PS3_PS4_SC_
                                        ; -- End function
	.section	.AMDGPU.csdata,"",@progbits
; Kernel info:
; codeLenInByte = 540
; NumSgprs: 24
; NumVgprs: 24
; NumAgprs: 0
; TotalNumVgprs: 24
; ScratchSize: 0
; MemoryBound: 0
; FloatMode: 240
; IeeeMode: 1
; LDSByteSize: 0 bytes/workgroup (compile time only)
; SGPRBlocks: 2
; VGPRBlocks: 2
; NumSGPRsForWavesPerEU: 24
; NumVGPRsForWavesPerEU: 24
; AccumOffset: 24
; Occupancy: 8
; WaveLimiterHint : 0
; COMPUTE_PGM_RSRC2:SCRATCH_EN: 0
; COMPUTE_PGM_RSRC2:USER_SGPR: 6
; COMPUTE_PGM_RSRC2:TRAP_HANDLER: 0
; COMPUTE_PGM_RSRC2:TGID_X_EN: 1
; COMPUTE_PGM_RSRC2:TGID_Y_EN: 0
; COMPUTE_PGM_RSRC2:TGID_Z_EN: 0
; COMPUTE_PGM_RSRC2:TIDIG_COMP_CNT: 0
; COMPUTE_PGM_RSRC3_GFX90A:ACCUM_OFFSET: 5
; COMPUTE_PGM_RSRC3_GFX90A:TG_SPLIT: 0
	.section	.text._ZN9rocsparseL14csr2ell_kernelILj512E21rocsparse_complex_numIdEilEEvT2_PKT0_PKT1_PKS3_21rocsparse_index_base_S3_PS3_PS4_SC_,"axG",@progbits,_ZN9rocsparseL14csr2ell_kernelILj512E21rocsparse_complex_numIdEilEEvT2_PKT0_PKT1_PKS3_21rocsparse_index_base_S3_PS3_PS4_SC_,comdat
	.globl	_ZN9rocsparseL14csr2ell_kernelILj512E21rocsparse_complex_numIdEilEEvT2_PKT0_PKT1_PKS3_21rocsparse_index_base_S3_PS3_PS4_SC_ ; -- Begin function _ZN9rocsparseL14csr2ell_kernelILj512E21rocsparse_complex_numIdEilEEvT2_PKT0_PKT1_PKS3_21rocsparse_index_base_S3_PS3_PS4_SC_
	.p2align	8
	.type	_ZN9rocsparseL14csr2ell_kernelILj512E21rocsparse_complex_numIdEilEEvT2_PKT0_PKT1_PKS3_21rocsparse_index_base_S3_PS3_PS4_SC_,@function
_ZN9rocsparseL14csr2ell_kernelILj512E21rocsparse_complex_numIdEilEEvT2_PKT0_PKT1_PKS3_21rocsparse_index_base_S3_PS3_PS4_SC_: ; @_ZN9rocsparseL14csr2ell_kernelILj512E21rocsparse_complex_numIdEilEEvT2_PKT0_PKT1_PKS3_21rocsparse_index_base_S3_PS3_PS4_SC_
; %bb.0:
	s_load_dwordx8 s[8:15], s[4:5], 0x0
	s_lshl_b32 s22, s6, 9
	v_or_b32_e32 v2, s22, v0
	v_mov_b32_e32 v3, 0
	s_waitcnt lgkmcnt(0)
	v_cmp_gt_i64_e32 vcc, s[8:9], v[2:3]
	s_and_saveexec_b64 s[0:1], vcc
	s_cbranch_execz .LBB18_7
; %bb.1:
	v_lshlrev_b64 v[4:5], 2, v[2:3]
	v_mov_b32_e32 v1, s13
	v_add_co_u32_e32 v4, vcc, s12, v4
	v_addc_co_u32_e32 v5, vcc, v1, v5, vcc
	global_load_dwordx2 v[6:7], v[4:5], off
	s_load_dword s0, s[4:5], 0x20
	s_load_dwordx4 s[16:19], s[4:5], 0x28
	s_load_dwordx2 s[6:7], s[4:5], 0x38
	s_mov_b64 s[12:13], 0
	s_waitcnt lgkmcnt(0)
	v_cmp_gt_i64_e64 s[2:3], s[16:17], 0
	s_waitcnt vmcnt(0)
	v_cmp_lt_i32_e32 vcc, v6, v7
	v_subrev_u32_e32 v4, s0, v6
	v_subrev_u32_e32 v1, s0, v7
	s_and_b64 s[2:3], s[2:3], vcc
	s_and_saveexec_b64 s[20:21], s[2:3]
	s_cbranch_execz .LBB18_4
; %bb.2:
	s_load_dword s1, s[4:5], 0x40
	v_ashrrev_i32_e32 v5, 31, v4
	v_lshlrev_b64 v[6:7], 3, v[4:5]
	v_mov_b32_e32 v3, s15
	v_add_co_u32_e32 v6, vcc, s14, v6
	s_waitcnt lgkmcnt(0)
	s_sub_u32 s9, s1, s0
	v_addc_co_u32_e32 v7, vcc, v3, v7, vcc
	v_lshlrev_b64 v[8:9], 4, v[4:5]
	s_subb_u32 s0, 0, 0
	v_mov_b32_e32 v3, s11
	v_add_co_u32_e32 v8, vcc, s10, v8
	v_addc_co_u32_e32 v9, vcc, v3, v9, vcc
	s_mov_b64 s[4:5], 1
	v_mov_b32_e32 v5, s0
	v_mov_b32_e32 v12, s19
	;; [unrolled: 1-line block ×3, first 2 shown]
	v_pk_mov_b32 v[10:11], s[16:17], s[16:17] op_sel:[0,1]
.LBB18_3:                               ; =>This Inner Loop Header: Depth=1
	global_load_dwordx2 v[14:15], v[6:7], off
	v_ashrrev_i32_e32 v3, 31, v2
	v_lshlrev_b64 v[16:17], 3, v[2:3]
	v_add_co_u32_e32 v16, vcc, s18, v16
	v_addc_co_u32_e32 v17, vcc, v12, v17, vcc
	v_add_co_u32_e64 v6, s[0:1], 8, v6
	v_add_u32_e32 v20, s4, v4
	v_addc_co_u32_e64 v7, s[0:1], 0, v7, s[0:1]
	v_cmp_ge_i32_e64 s[0:1], v20, v1
	v_lshlrev_b64 v[18:19], 4, v[2:3]
	v_add_co_u32_e64 v18, s[2:3], s6, v18
	v_add_u32_e32 v2, s8, v2
	v_addc_co_u32_e64 v19, s[2:3], v13, v19, s[2:3]
	s_waitcnt vmcnt(0)
	v_add_co_u32_e32 v14, vcc, s9, v14
	v_addc_co_u32_e32 v15, vcc, v5, v15, vcc
	global_store_dwordx2 v[16:17], v[14:15], off
	global_load_dwordx4 v[14:17], v[8:9], off
	v_cmp_ge_i64_e32 vcc, s[4:5], v[10:11]
	s_or_b64 s[0:1], s[0:1], vcc
	s_add_u32 s4, s4, 1
	s_addc_u32 s5, s5, 0
	s_and_b64 s[0:1], exec, s[0:1]
	v_add_co_u32_e32 v8, vcc, 16, v8
	s_or_b64 s[12:13], s[0:1], s[12:13]
	v_addc_co_u32_e32 v9, vcc, 0, v9, vcc
	s_waitcnt vmcnt(0)
	global_store_dwordx4 v[18:19], v[14:17], off
	s_andn2_b64 exec, exec, s[12:13]
	s_cbranch_execnz .LBB18_3
.LBB18_4:
	s_or_b64 exec, exec, s[20:21]
	v_sub_u32_e32 v4, v1, v4
	v_ashrrev_i32_e32 v5, 31, v4
	v_cmp_gt_i64_e32 vcc, s[16:17], v[4:5]
	s_and_b64 exec, exec, vcc
	s_cbranch_execz .LBB18_7
; %bb.5:
	v_mul_lo_u32 v1, v4, s8
	v_add3_u32 v6, v0, v1, s22
	v_mov_b32_e32 v8, -1
	v_mov_b32_e32 v0, 0
	s_mov_b64 s[0:1], 0
	v_mov_b32_e32 v10, s19
	v_mov_b32_e32 v9, v8
	;; [unrolled: 1-line block ×6, first 2 shown]
.LBB18_6:                               ; =>This Inner Loop Header: Depth=1
	v_ashrrev_i32_e32 v7, 31, v6
	v_lshlrev_b64 v[12:13], 3, v[6:7]
	v_add_co_u32_e32 v12, vcc, s18, v12
	v_addc_co_u32_e32 v13, vcc, v10, v13, vcc
	global_store_dwordx2 v[12:13], v[8:9], off
	v_lshlrev_b64 v[12:13], 4, v[6:7]
	v_add_co_u32_e32 v12, vcc, s6, v12
	v_addc_co_u32_e32 v13, vcc, v11, v13, vcc
	v_add_co_u32_e32 v4, vcc, 1, v4
	v_addc_co_u32_e32 v5, vcc, 0, v5, vcc
	v_cmp_le_i64_e32 vcc, s[16:17], v[4:5]
	s_or_b64 s[0:1], vcc, s[0:1]
	v_add_u32_e32 v6, s8, v6
	global_store_dwordx4 v[12:13], v[0:3], off
	s_andn2_b64 exec, exec, s[0:1]
	s_cbranch_execnz .LBB18_6
.LBB18_7:
	s_endpgm
	.section	.rodata,"a",@progbits
	.p2align	6, 0x0
	.amdhsa_kernel _ZN9rocsparseL14csr2ell_kernelILj512E21rocsparse_complex_numIdEilEEvT2_PKT0_PKT1_PKS3_21rocsparse_index_base_S3_PS3_PS4_SC_
		.amdhsa_group_segment_fixed_size 0
		.amdhsa_private_segment_fixed_size 0
		.amdhsa_kernarg_size 68
		.amdhsa_user_sgpr_count 6
		.amdhsa_user_sgpr_private_segment_buffer 1
		.amdhsa_user_sgpr_dispatch_ptr 0
		.amdhsa_user_sgpr_queue_ptr 0
		.amdhsa_user_sgpr_kernarg_segment_ptr 1
		.amdhsa_user_sgpr_dispatch_id 0
		.amdhsa_user_sgpr_flat_scratch_init 0
		.amdhsa_user_sgpr_kernarg_preload_length 0
		.amdhsa_user_sgpr_kernarg_preload_offset 0
		.amdhsa_user_sgpr_private_segment_size 0
		.amdhsa_uses_dynamic_stack 0
		.amdhsa_system_sgpr_private_segment_wavefront_offset 0
		.amdhsa_system_sgpr_workgroup_id_x 1
		.amdhsa_system_sgpr_workgroup_id_y 0
		.amdhsa_system_sgpr_workgroup_id_z 0
		.amdhsa_system_sgpr_workgroup_info 0
		.amdhsa_system_vgpr_workitem_id 0
		.amdhsa_next_free_vgpr 21
		.amdhsa_next_free_sgpr 23
		.amdhsa_accum_offset 24
		.amdhsa_reserve_vcc 1
		.amdhsa_reserve_flat_scratch 0
		.amdhsa_float_round_mode_32 0
		.amdhsa_float_round_mode_16_64 0
		.amdhsa_float_denorm_mode_32 3
		.amdhsa_float_denorm_mode_16_64 3
		.amdhsa_dx10_clamp 1
		.amdhsa_ieee_mode 1
		.amdhsa_fp16_overflow 0
		.amdhsa_tg_split 0
		.amdhsa_exception_fp_ieee_invalid_op 0
		.amdhsa_exception_fp_denorm_src 0
		.amdhsa_exception_fp_ieee_div_zero 0
		.amdhsa_exception_fp_ieee_overflow 0
		.amdhsa_exception_fp_ieee_underflow 0
		.amdhsa_exception_fp_ieee_inexact 0
		.amdhsa_exception_int_div_zero 0
	.end_amdhsa_kernel
	.section	.text._ZN9rocsparseL14csr2ell_kernelILj512E21rocsparse_complex_numIdEilEEvT2_PKT0_PKT1_PKS3_21rocsparse_index_base_S3_PS3_PS4_SC_,"axG",@progbits,_ZN9rocsparseL14csr2ell_kernelILj512E21rocsparse_complex_numIdEilEEvT2_PKT0_PKT1_PKS3_21rocsparse_index_base_S3_PS3_PS4_SC_,comdat
.Lfunc_end18:
	.size	_ZN9rocsparseL14csr2ell_kernelILj512E21rocsparse_complex_numIdEilEEvT2_PKT0_PKT1_PKS3_21rocsparse_index_base_S3_PS3_PS4_SC_, .Lfunc_end18-_ZN9rocsparseL14csr2ell_kernelILj512E21rocsparse_complex_numIdEilEEvT2_PKT0_PKT1_PKS3_21rocsparse_index_base_S3_PS3_PS4_SC_
                                        ; -- End function
	.section	.AMDGPU.csdata,"",@progbits
; Kernel info:
; codeLenInByte = 544
; NumSgprs: 27
; NumVgprs: 21
; NumAgprs: 0
; TotalNumVgprs: 21
; ScratchSize: 0
; MemoryBound: 0
; FloatMode: 240
; IeeeMode: 1
; LDSByteSize: 0 bytes/workgroup (compile time only)
; SGPRBlocks: 3
; VGPRBlocks: 2
; NumSGPRsForWavesPerEU: 27
; NumVGPRsForWavesPerEU: 21
; AccumOffset: 24
; Occupancy: 8
; WaveLimiterHint : 0
; COMPUTE_PGM_RSRC2:SCRATCH_EN: 0
; COMPUTE_PGM_RSRC2:USER_SGPR: 6
; COMPUTE_PGM_RSRC2:TRAP_HANDLER: 0
; COMPUTE_PGM_RSRC2:TGID_X_EN: 1
; COMPUTE_PGM_RSRC2:TGID_Y_EN: 0
; COMPUTE_PGM_RSRC2:TGID_Z_EN: 0
; COMPUTE_PGM_RSRC2:TIDIG_COMP_CNT: 0
; COMPUTE_PGM_RSRC3_GFX90A:ACCUM_OFFSET: 5
; COMPUTE_PGM_RSRC3_GFX90A:TG_SPLIT: 0
	.section	.text._ZN9rocsparseL14csr2ell_kernelILj512E21rocsparse_complex_numIdEllEEvT2_PKT0_PKT1_PKS3_21rocsparse_index_base_S3_PS3_PS4_SC_,"axG",@progbits,_ZN9rocsparseL14csr2ell_kernelILj512E21rocsparse_complex_numIdEllEEvT2_PKT0_PKT1_PKS3_21rocsparse_index_base_S3_PS3_PS4_SC_,comdat
	.globl	_ZN9rocsparseL14csr2ell_kernelILj512E21rocsparse_complex_numIdEllEEvT2_PKT0_PKT1_PKS3_21rocsparse_index_base_S3_PS3_PS4_SC_ ; -- Begin function _ZN9rocsparseL14csr2ell_kernelILj512E21rocsparse_complex_numIdEllEEvT2_PKT0_PKT1_PKS3_21rocsparse_index_base_S3_PS3_PS4_SC_
	.p2align	8
	.type	_ZN9rocsparseL14csr2ell_kernelILj512E21rocsparse_complex_numIdEllEEvT2_PKT0_PKT1_PKS3_21rocsparse_index_base_S3_PS3_PS4_SC_,@function
_ZN9rocsparseL14csr2ell_kernelILj512E21rocsparse_complex_numIdEllEEvT2_PKT0_PKT1_PKS3_21rocsparse_index_base_S3_PS3_PS4_SC_: ; @_ZN9rocsparseL14csr2ell_kernelILj512E21rocsparse_complex_numIdEllEEvT2_PKT0_PKT1_PKS3_21rocsparse_index_base_S3_PS3_PS4_SC_
; %bb.0:
	s_load_dwordx8 s[8:15], s[4:5], 0x0
	v_lshl_or_b32 v4, s6, 9, v0
	v_mov_b32_e32 v5, 0
	s_waitcnt lgkmcnt(0)
	v_cmp_gt_i64_e32 vcc, s[8:9], v[4:5]
	s_and_saveexec_b64 s[0:1], vcc
	s_cbranch_execz .LBB19_7
; %bb.1:
	v_lshlrev_b64 v[6:7], 3, v[4:5]
	v_mov_b32_e32 v1, s13
	v_add_co_u32_e32 v0, vcc, s12, v6
	v_addc_co_u32_e32 v1, vcc, v1, v7, vcc
	global_load_dwordx4 v[0:3], v[0:1], off
	s_load_dword s0, s[4:5], 0x20
	s_load_dwordx4 s[16:19], s[4:5], 0x28
	s_load_dwordx2 s[6:7], s[4:5], 0x38
	s_mov_b64 s[12:13], 0
	s_waitcnt lgkmcnt(0)
	v_cmp_gt_i64_e64 s[2:3], s[16:17], 0
	s_waitcnt vmcnt(0)
	v_subrev_co_u32_e32 v8, vcc, s0, v0
	v_subbrev_co_u32_e32 v16, vcc, 0, v1, vcc
	v_subrev_co_u32_e32 v2, vcc, s0, v2
	v_subbrev_co_u32_e32 v3, vcc, 0, v3, vcc
	v_ashrrev_i32_e32 v9, 31, v8
	v_cmp_gt_i64_e32 vcc, v[2:3], v[8:9]
	s_and_b64 s[2:3], s[2:3], vcc
	s_and_saveexec_b64 s[20:21], s[2:3]
	s_cbranch_execz .LBB19_4
; %bb.2:
	s_load_dword s1, s[4:5], 0x40
	v_subrev_u32_e32 v0, s0, v0
	v_add_u32_e32 v0, 1, v0
	s_mov_b64 s[4:5], 1
	v_ashrrev_i32_e32 v1, 31, v0
	s_waitcnt lgkmcnt(0)
	s_sub_u32 s22, s1, s0
	s_subb_u32 s0, 0, 0
	v_mov_b32_e32 v17, s15
	v_mov_b32_e32 v18, s0
	;; [unrolled: 1-line block ×5, first 2 shown]
	v_pk_mov_b32 v[10:11], s[16:17], s[16:17] op_sel:[0,1]
	v_mov_b32_e32 v12, v4
	v_pk_mov_b32 v[14:15], v[8:9], v[8:9] op_sel:[0,1]
	v_mov_b32_e32 v9, v8
.LBB19_3:                               ; =>This Inner Loop Header: Depth=1
	v_lshlrev_b64 v[22:23], 3, v[14:15]
	v_add_co_u32_e32 v22, vcc, s14, v22
	v_addc_co_u32_e32 v23, vcc, v17, v23, vcc
	global_load_dwordx2 v[22:23], v[22:23], off
	v_lshlrev_b64 v[14:15], 4, v[14:15]
	v_ashrrev_i32_e32 v13, 31, v12
	v_add_co_u32_e32 v14, vcc, s10, v14
	v_lshlrev_b64 v[24:25], 3, v[12:13]
	v_addc_co_u32_e32 v15, vcc, v20, v15, vcc
	v_add_co_u32_e32 v24, vcc, s18, v24
	v_addc_co_u32_e32 v25, vcc, v19, v25, vcc
	v_add_co_u32_e64 v28, s[0:1], s4, v0
	v_lshlrev_b64 v[26:27], 4, v[12:13]
	v_add_co_u32_e64 v26, s[2:3], s6, v26
	v_add_u32_e32 v12, s8, v12
	v_addc_co_u32_e64 v27, s[2:3], v21, v27, s[2:3]
	s_waitcnt vmcnt(0)
	v_add_co_u32_e32 v22, vcc, s22, v22
	v_addc_co_u32_e32 v23, vcc, v18, v23, vcc
	global_store_dwordx2 v[24:25], v[22:23], off
	global_load_dwordx4 v[22:25], v[14:15], off
	v_add_u32_e32 v14, 1, v9
	v_mov_b32_e32 v9, s5
	v_addc_co_u32_e64 v13, s[0:1], v1, v9, s[0:1]
	v_add_co_u32_e64 v28, s[0:1], -1, v28
	v_addc_co_u32_e64 v29, s[0:1], -1, v13, s[0:1]
	v_cmp_ge_i64_e32 vcc, s[4:5], v[10:11]
	v_cmp_le_i64_e64 s[0:1], v[2:3], v[28:29]
	s_or_b64 s[0:1], s[0:1], vcc
	s_add_u32 s4, s4, 1
	s_addc_u32 s5, s5, 0
	s_and_b64 s[0:1], exec, s[0:1]
	v_ashrrev_i32_e32 v15, 31, v14
	v_mov_b32_e32 v9, v14
	s_or_b64 s[12:13], s[0:1], s[12:13]
	s_waitcnt vmcnt(0)
	global_store_dwordx4 v[26:27], v[22:25], off
	s_andn2_b64 exec, exec, s[12:13]
	s_cbranch_execnz .LBB19_3
.LBB19_4:
	s_or_b64 exec, exec, s[20:21]
	v_sub_co_u32_e32 v8, vcc, v2, v8
	v_subb_co_u32_e32 v9, vcc, v3, v16, vcc
	v_cmp_gt_i64_e32 vcc, s[16:17], v[8:9]
	s_and_b64 exec, exec, vcc
	s_cbranch_execz .LBB19_7
; %bb.5:
	v_mul_lo_u32 v2, s9, v8
	v_mul_lo_u32 v3, s8, v9
	v_mad_u64_u32 v[0:1], s[0:1], s8, v8, 0
	v_add3_u32 v1, v1, v3, v2
	v_lshlrev_b64 v[2:3], 3, v[0:1]
	v_add_co_u32_e32 v2, vcc, v2, v6
	v_addc_co_u32_e32 v3, vcc, v3, v7, vcc
	v_mov_b32_e32 v7, s19
	v_add_co_u32_e32 v6, vcc, s18, v2
	v_addc_co_u32_e32 v7, vcc, v7, v3, vcc
	v_lshlrev_b64 v[0:1], 4, v[0:1]
	v_lshlrev_b64 v[2:3], 4, v[4:5]
	v_add_co_u32_e32 v0, vcc, v0, v2
	v_addc_co_u32_e32 v1, vcc, v1, v3, vcc
	v_mov_b32_e32 v2, s7
	v_add_co_u32_e32 v0, vcc, s6, v0
	v_addc_co_u32_e32 v1, vcc, v1, v2, vcc
	s_lshl_b64 s[2:3], s[8:9], 3
	v_add_co_u32_e32 v4, vcc, 8, v0
	s_lshl_b64 s[4:5], s[8:9], 4
	v_mov_b32_e32 v10, -1
	v_mov_b32_e32 v0, 0
	v_addc_co_u32_e32 v5, vcc, 0, v1, vcc
	s_mov_b64 s[6:7], 0
	v_mov_b32_e32 v11, v10
	v_mov_b32_e32 v1, v0
	;; [unrolled: 1-line block ×6, first 2 shown]
.LBB19_6:                               ; =>This Inner Loop Header: Depth=1
	v_add_co_u32_e32 v8, vcc, 1, v8
	v_addc_co_u32_e32 v9, vcc, 0, v9, vcc
	global_store_dwordx2 v[6:7], v[10:11], off
	global_store_dwordx4 v[4:5], v[0:3], off offset:-8
	v_add_co_u32_e32 v6, vcc, s2, v6
	v_addc_co_u32_e32 v7, vcc, v7, v12, vcc
	v_add_co_u32_e32 v4, vcc, s4, v4
	v_cmp_le_i64_e64 s[0:1], s[16:17], v[8:9]
	s_or_b64 s[6:7], s[0:1], s[6:7]
	v_addc_co_u32_e32 v5, vcc, v5, v13, vcc
	s_andn2_b64 exec, exec, s[6:7]
	s_cbranch_execnz .LBB19_6
.LBB19_7:
	s_endpgm
	.section	.rodata,"a",@progbits
	.p2align	6, 0x0
	.amdhsa_kernel _ZN9rocsparseL14csr2ell_kernelILj512E21rocsparse_complex_numIdEllEEvT2_PKT0_PKT1_PKS3_21rocsparse_index_base_S3_PS3_PS4_SC_
		.amdhsa_group_segment_fixed_size 0
		.amdhsa_private_segment_fixed_size 0
		.amdhsa_kernarg_size 68
		.amdhsa_user_sgpr_count 6
		.amdhsa_user_sgpr_private_segment_buffer 1
		.amdhsa_user_sgpr_dispatch_ptr 0
		.amdhsa_user_sgpr_queue_ptr 0
		.amdhsa_user_sgpr_kernarg_segment_ptr 1
		.amdhsa_user_sgpr_dispatch_id 0
		.amdhsa_user_sgpr_flat_scratch_init 0
		.amdhsa_user_sgpr_kernarg_preload_length 0
		.amdhsa_user_sgpr_kernarg_preload_offset 0
		.amdhsa_user_sgpr_private_segment_size 0
		.amdhsa_uses_dynamic_stack 0
		.amdhsa_system_sgpr_private_segment_wavefront_offset 0
		.amdhsa_system_sgpr_workgroup_id_x 1
		.amdhsa_system_sgpr_workgroup_id_y 0
		.amdhsa_system_sgpr_workgroup_id_z 0
		.amdhsa_system_sgpr_workgroup_info 0
		.amdhsa_system_vgpr_workitem_id 0
		.amdhsa_next_free_vgpr 30
		.amdhsa_next_free_sgpr 23
		.amdhsa_accum_offset 32
		.amdhsa_reserve_vcc 1
		.amdhsa_reserve_flat_scratch 0
		.amdhsa_float_round_mode_32 0
		.amdhsa_float_round_mode_16_64 0
		.amdhsa_float_denorm_mode_32 3
		.amdhsa_float_denorm_mode_16_64 3
		.amdhsa_dx10_clamp 1
		.amdhsa_ieee_mode 1
		.amdhsa_fp16_overflow 0
		.amdhsa_tg_split 0
		.amdhsa_exception_fp_ieee_invalid_op 0
		.amdhsa_exception_fp_denorm_src 0
		.amdhsa_exception_fp_ieee_div_zero 0
		.amdhsa_exception_fp_ieee_overflow 0
		.amdhsa_exception_fp_ieee_underflow 0
		.amdhsa_exception_fp_ieee_inexact 0
		.amdhsa_exception_int_div_zero 0
	.end_amdhsa_kernel
	.section	.text._ZN9rocsparseL14csr2ell_kernelILj512E21rocsparse_complex_numIdEllEEvT2_PKT0_PKT1_PKS3_21rocsparse_index_base_S3_PS3_PS4_SC_,"axG",@progbits,_ZN9rocsparseL14csr2ell_kernelILj512E21rocsparse_complex_numIdEllEEvT2_PKT0_PKT1_PKS3_21rocsparse_index_base_S3_PS3_PS4_SC_,comdat
.Lfunc_end19:
	.size	_ZN9rocsparseL14csr2ell_kernelILj512E21rocsparse_complex_numIdEllEEvT2_PKT0_PKT1_PKS3_21rocsparse_index_base_S3_PS3_PS4_SC_, .Lfunc_end19-_ZN9rocsparseL14csr2ell_kernelILj512E21rocsparse_complex_numIdEllEEvT2_PKT0_PKT1_PKS3_21rocsparse_index_base_S3_PS3_PS4_SC_
                                        ; -- End function
	.section	.AMDGPU.csdata,"",@progbits
; Kernel info:
; codeLenInByte = 676
; NumSgprs: 27
; NumVgprs: 30
; NumAgprs: 0
; TotalNumVgprs: 30
; ScratchSize: 0
; MemoryBound: 0
; FloatMode: 240
; IeeeMode: 1
; LDSByteSize: 0 bytes/workgroup (compile time only)
; SGPRBlocks: 3
; VGPRBlocks: 3
; NumSGPRsForWavesPerEU: 27
; NumVGPRsForWavesPerEU: 30
; AccumOffset: 32
; Occupancy: 8
; WaveLimiterHint : 0
; COMPUTE_PGM_RSRC2:SCRATCH_EN: 0
; COMPUTE_PGM_RSRC2:USER_SGPR: 6
; COMPUTE_PGM_RSRC2:TRAP_HANDLER: 0
; COMPUTE_PGM_RSRC2:TGID_X_EN: 1
; COMPUTE_PGM_RSRC2:TGID_Y_EN: 0
; COMPUTE_PGM_RSRC2:TGID_Z_EN: 0
; COMPUTE_PGM_RSRC2:TIDIG_COMP_CNT: 0
; COMPUTE_PGM_RSRC3_GFX90A:ACCUM_OFFSET: 7
; COMPUTE_PGM_RSRC3_GFX90A:TG_SPLIT: 0
	.text
	.p2alignl 6, 3212836864
	.fill 256, 4, 3212836864
	.type	__hip_cuid_ef33d4dadc9cf017,@object ; @__hip_cuid_ef33d4dadc9cf017
	.section	.bss,"aw",@nobits
	.globl	__hip_cuid_ef33d4dadc9cf017
__hip_cuid_ef33d4dadc9cf017:
	.byte	0                               ; 0x0
	.size	__hip_cuid_ef33d4dadc9cf017, 1

	.ident	"AMD clang version 19.0.0git (https://github.com/RadeonOpenCompute/llvm-project roc-6.4.0 25133 c7fe45cf4b819c5991fe208aaa96edf142730f1d)"
	.section	".note.GNU-stack","",@progbits
	.addrsig
	.addrsig_sym __hip_cuid_ef33d4dadc9cf017
	.amdgpu_metadata
---
amdhsa.kernels:
  - .agpr_count:     0
    .args:
      - .offset:         0
        .size:           4
        .value_kind:     by_value
      - .address_space:  global
        .offset:         8
        .size:           8
        .value_kind:     global_buffer
      - .address_space:  global
        .offset:         16
        .size:           8
        .value_kind:     global_buffer
      - .address_space:  global
        .offset:         24
        .size:           8
        .value_kind:     global_buffer
      - .offset:         32
        .size:           4
        .value_kind:     by_value
      - .offset:         36
        .size:           4
        .value_kind:     by_value
      - .address_space:  global
        .offset:         40
        .size:           8
        .value_kind:     global_buffer
      - .address_space:  global
        .offset:         48
        .size:           8
        .value_kind:     global_buffer
      - .offset:         56
        .size:           4
        .value_kind:     by_value
    .group_segment_fixed_size: 0
    .kernarg_segment_align: 8
    .kernarg_segment_size: 60
    .language:       OpenCL C
    .language_version:
      - 2
      - 0
    .max_flat_workgroup_size: 512
    .name:           _ZN9rocsparseL14csr2ell_kernelILj512EiiiEEvT2_PKT0_PKT1_PKS1_21rocsparse_index_base_S1_PS1_PS2_SA_
    .private_segment_fixed_size: 0
    .sgpr_count:     22
    .sgpr_spill_count: 0
    .symbol:         _ZN9rocsparseL14csr2ell_kernelILj512EiiiEEvT2_PKT0_PKT1_PKS1_21rocsparse_index_base_S1_PS1_PS2_SA_.kd
    .uniform_work_group_size: 1
    .uses_dynamic_stack: false
    .vgpr_count:     16
    .vgpr_spill_count: 0
    .wavefront_size: 64
  - .agpr_count:     0
    .args:
      - .offset:         0
        .size:           4
        .value_kind:     by_value
      - .address_space:  global
        .offset:         8
        .size:           8
        .value_kind:     global_buffer
      - .address_space:  global
        .offset:         16
        .size:           8
        .value_kind:     global_buffer
      - .address_space:  global
        .offset:         24
        .size:           8
        .value_kind:     global_buffer
      - .offset:         32
        .size:           4
        .value_kind:     by_value
      - .offset:         36
        .size:           4
        .value_kind:     by_value
      - .address_space:  global
        .offset:         40
        .size:           8
        .value_kind:     global_buffer
      - .address_space:  global
        .offset:         48
        .size:           8
        .value_kind:     global_buffer
      - .offset:         56
        .size:           4
        .value_kind:     by_value
    .group_segment_fixed_size: 0
    .kernarg_segment_align: 8
    .kernarg_segment_size: 60
    .language:       OpenCL C
    .language_version:
      - 2
      - 0
    .max_flat_workgroup_size: 512
    .name:           _ZN9rocsparseL14csr2ell_kernelILj512EiliEEvT2_PKT0_PKT1_PKS1_21rocsparse_index_base_S1_PS1_PS2_SA_
    .private_segment_fixed_size: 0
    .sgpr_count:     24
    .sgpr_spill_count: 0
    .symbol:         _ZN9rocsparseL14csr2ell_kernelILj512EiliEEvT2_PKT0_PKT1_PKS1_21rocsparse_index_base_S1_PS1_PS2_SA_.kd
    .uniform_work_group_size: 1
    .uses_dynamic_stack: false
    .vgpr_count:     20
    .vgpr_spill_count: 0
    .wavefront_size: 64
  - .agpr_count:     0
    .args:
      - .offset:         0
        .size:           8
        .value_kind:     by_value
      - .address_space:  global
        .offset:         8
        .size:           8
        .value_kind:     global_buffer
      - .address_space:  global
        .offset:         16
        .size:           8
        .value_kind:     global_buffer
      - .address_space:  global
        .offset:         24
        .size:           8
        .value_kind:     global_buffer
      - .offset:         32
        .size:           4
        .value_kind:     by_value
      - .offset:         40
        .size:           8
        .value_kind:     by_value
      - .address_space:  global
        .offset:         48
        .size:           8
        .value_kind:     global_buffer
      - .address_space:  global
        .offset:         56
        .size:           8
        .value_kind:     global_buffer
      - .offset:         64
        .size:           4
        .value_kind:     by_value
    .group_segment_fixed_size: 0
    .kernarg_segment_align: 8
    .kernarg_segment_size: 68
    .language:       OpenCL C
    .language_version:
      - 2
      - 0
    .max_flat_workgroup_size: 512
    .name:           _ZN9rocsparseL14csr2ell_kernelILj512EiilEEvT2_PKT0_PKT1_PKS1_21rocsparse_index_base_S1_PS1_PS2_SA_
    .private_segment_fixed_size: 0
    .sgpr_count:     27
    .sgpr_spill_count: 0
    .symbol:         _ZN9rocsparseL14csr2ell_kernelILj512EiilEEvT2_PKT0_PKT1_PKS1_21rocsparse_index_base_S1_PS1_PS2_SA_.kd
    .uniform_work_group_size: 1
    .uses_dynamic_stack: false
    .vgpr_count:     22
    .vgpr_spill_count: 0
    .wavefront_size: 64
  - .agpr_count:     0
    .args:
      - .offset:         0
        .size:           8
        .value_kind:     by_value
      - .address_space:  global
        .offset:         8
        .size:           8
        .value_kind:     global_buffer
      - .address_space:  global
        .offset:         16
        .size:           8
        .value_kind:     global_buffer
      - .address_space:  global
        .offset:         24
        .size:           8
        .value_kind:     global_buffer
      - .offset:         32
        .size:           4
        .value_kind:     by_value
      - .offset:         40
        .size:           8
        .value_kind:     by_value
      - .address_space:  global
        .offset:         48
        .size:           8
        .value_kind:     global_buffer
      - .address_space:  global
        .offset:         56
        .size:           8
        .value_kind:     global_buffer
      - .offset:         64
        .size:           4
        .value_kind:     by_value
    .group_segment_fixed_size: 0
    .kernarg_segment_align: 8
    .kernarg_segment_size: 68
    .language:       OpenCL C
    .language_version:
      - 2
      - 0
    .max_flat_workgroup_size: 512
    .name:           _ZN9rocsparseL14csr2ell_kernelILj512EillEEvT2_PKT0_PKT1_PKS1_21rocsparse_index_base_S1_PS1_PS2_SA_
    .private_segment_fixed_size: 0
    .sgpr_count:     27
    .sgpr_spill_count: 0
    .symbol:         _ZN9rocsparseL14csr2ell_kernelILj512EillEEvT2_PKT0_PKT1_PKS1_21rocsparse_index_base_S1_PS1_PS2_SA_.kd
    .uniform_work_group_size: 1
    .uses_dynamic_stack: false
    .vgpr_count:     31
    .vgpr_spill_count: 0
    .wavefront_size: 64
  - .agpr_count:     0
    .args:
      - .offset:         0
        .size:           4
        .value_kind:     by_value
      - .address_space:  global
        .offset:         8
        .size:           8
        .value_kind:     global_buffer
      - .address_space:  global
        .offset:         16
        .size:           8
        .value_kind:     global_buffer
      - .address_space:  global
        .offset:         24
        .size:           8
        .value_kind:     global_buffer
      - .offset:         32
        .size:           4
        .value_kind:     by_value
      - .offset:         36
        .size:           4
        .value_kind:     by_value
      - .address_space:  global
        .offset:         40
        .size:           8
        .value_kind:     global_buffer
      - .address_space:  global
        .offset:         48
        .size:           8
        .value_kind:     global_buffer
      - .offset:         56
        .size:           4
        .value_kind:     by_value
    .group_segment_fixed_size: 0
    .kernarg_segment_align: 8
    .kernarg_segment_size: 60
    .language:       OpenCL C
    .language_version:
      - 2
      - 0
    .max_flat_workgroup_size: 512
    .name:           _ZN9rocsparseL14csr2ell_kernelILj512EfiiEEvT2_PKT0_PKT1_PKS1_21rocsparse_index_base_S1_PS1_PS2_SA_
    .private_segment_fixed_size: 0
    .sgpr_count:     22
    .sgpr_spill_count: 0
    .symbol:         _ZN9rocsparseL14csr2ell_kernelILj512EfiiEEvT2_PKT0_PKT1_PKS1_21rocsparse_index_base_S1_PS1_PS2_SA_.kd
    .uniform_work_group_size: 1
    .uses_dynamic_stack: false
    .vgpr_count:     20
    .vgpr_spill_count: 0
    .wavefront_size: 64
  - .agpr_count:     0
    .args:
      - .offset:         0
        .size:           4
        .value_kind:     by_value
      - .address_space:  global
        .offset:         8
        .size:           8
        .value_kind:     global_buffer
      - .address_space:  global
        .offset:         16
        .size:           8
        .value_kind:     global_buffer
      - .address_space:  global
        .offset:         24
        .size:           8
        .value_kind:     global_buffer
      - .offset:         32
        .size:           4
        .value_kind:     by_value
      - .offset:         36
        .size:           4
        .value_kind:     by_value
      - .address_space:  global
        .offset:         40
        .size:           8
        .value_kind:     global_buffer
      - .address_space:  global
        .offset:         48
        .size:           8
        .value_kind:     global_buffer
      - .offset:         56
        .size:           4
        .value_kind:     by_value
    .group_segment_fixed_size: 0
    .kernarg_segment_align: 8
    .kernarg_segment_size: 60
    .language:       OpenCL C
    .language_version:
      - 2
      - 0
    .max_flat_workgroup_size: 512
    .name:           _ZN9rocsparseL14csr2ell_kernelILj512EfliEEvT2_PKT0_PKT1_PKS1_21rocsparse_index_base_S1_PS1_PS2_SA_
    .private_segment_fixed_size: 0
    .sgpr_count:     24
    .sgpr_spill_count: 0
    .symbol:         _ZN9rocsparseL14csr2ell_kernelILj512EfliEEvT2_PKT0_PKT1_PKS1_21rocsparse_index_base_S1_PS1_PS2_SA_.kd
    .uniform_work_group_size: 1
    .uses_dynamic_stack: false
    .vgpr_count:     26
    .vgpr_spill_count: 0
    .wavefront_size: 64
  - .agpr_count:     0
    .args:
      - .offset:         0
        .size:           8
        .value_kind:     by_value
      - .address_space:  global
        .offset:         8
        .size:           8
        .value_kind:     global_buffer
      - .address_space:  global
        .offset:         16
        .size:           8
        .value_kind:     global_buffer
      - .address_space:  global
        .offset:         24
        .size:           8
        .value_kind:     global_buffer
      - .offset:         32
        .size:           4
        .value_kind:     by_value
      - .offset:         40
        .size:           8
        .value_kind:     by_value
      - .address_space:  global
        .offset:         48
        .size:           8
        .value_kind:     global_buffer
      - .address_space:  global
        .offset:         56
        .size:           8
        .value_kind:     global_buffer
      - .offset:         64
        .size:           4
        .value_kind:     by_value
    .group_segment_fixed_size: 0
    .kernarg_segment_align: 8
    .kernarg_segment_size: 68
    .language:       OpenCL C
    .language_version:
      - 2
      - 0
    .max_flat_workgroup_size: 512
    .name:           _ZN9rocsparseL14csr2ell_kernelILj512EfilEEvT2_PKT0_PKT1_PKS1_21rocsparse_index_base_S1_PS1_PS2_SA_
    .private_segment_fixed_size: 0
    .sgpr_count:     27
    .sgpr_spill_count: 0
    .symbol:         _ZN9rocsparseL14csr2ell_kernelILj512EfilEEvT2_PKT0_PKT1_PKS1_21rocsparse_index_base_S1_PS1_PS2_SA_.kd
    .uniform_work_group_size: 1
    .uses_dynamic_stack: false
    .vgpr_count:     22
    .vgpr_spill_count: 0
    .wavefront_size: 64
  - .agpr_count:     0
    .args:
      - .offset:         0
        .size:           8
        .value_kind:     by_value
      - .address_space:  global
        .offset:         8
        .size:           8
        .value_kind:     global_buffer
      - .address_space:  global
        .offset:         16
        .size:           8
        .value_kind:     global_buffer
      - .address_space:  global
        .offset:         24
        .size:           8
        .value_kind:     global_buffer
      - .offset:         32
        .size:           4
        .value_kind:     by_value
      - .offset:         40
        .size:           8
        .value_kind:     by_value
      - .address_space:  global
        .offset:         48
        .size:           8
        .value_kind:     global_buffer
      - .address_space:  global
        .offset:         56
        .size:           8
        .value_kind:     global_buffer
      - .offset:         64
        .size:           4
        .value_kind:     by_value
    .group_segment_fixed_size: 0
    .kernarg_segment_align: 8
    .kernarg_segment_size: 68
    .language:       OpenCL C
    .language_version:
      - 2
      - 0
    .max_flat_workgroup_size: 512
    .name:           _ZN9rocsparseL14csr2ell_kernelILj512EfllEEvT2_PKT0_PKT1_PKS1_21rocsparse_index_base_S1_PS1_PS2_SA_
    .private_segment_fixed_size: 0
    .sgpr_count:     27
    .sgpr_spill_count: 0
    .symbol:         _ZN9rocsparseL14csr2ell_kernelILj512EfllEEvT2_PKT0_PKT1_PKS1_21rocsparse_index_base_S1_PS1_PS2_SA_.kd
    .uniform_work_group_size: 1
    .uses_dynamic_stack: false
    .vgpr_count:     31
    .vgpr_spill_count: 0
    .wavefront_size: 64
  - .agpr_count:     0
    .args:
      - .offset:         0
        .size:           4
        .value_kind:     by_value
      - .address_space:  global
        .offset:         8
        .size:           8
        .value_kind:     global_buffer
      - .address_space:  global
        .offset:         16
        .size:           8
        .value_kind:     global_buffer
      - .address_space:  global
        .offset:         24
        .size:           8
        .value_kind:     global_buffer
      - .offset:         32
        .size:           4
        .value_kind:     by_value
      - .offset:         36
        .size:           4
        .value_kind:     by_value
      - .address_space:  global
        .offset:         40
        .size:           8
        .value_kind:     global_buffer
      - .address_space:  global
        .offset:         48
        .size:           8
        .value_kind:     global_buffer
      - .offset:         56
        .size:           4
        .value_kind:     by_value
    .group_segment_fixed_size: 0
    .kernarg_segment_align: 8
    .kernarg_segment_size: 60
    .language:       OpenCL C
    .language_version:
      - 2
      - 0
    .max_flat_workgroup_size: 512
    .name:           _ZN9rocsparseL14csr2ell_kernelILj512EdiiEEvT2_PKT0_PKT1_PKS1_21rocsparse_index_base_S1_PS1_PS2_SA_
    .private_segment_fixed_size: 0
    .sgpr_count:     22
    .sgpr_spill_count: 0
    .symbol:         _ZN9rocsparseL14csr2ell_kernelILj512EdiiEEvT2_PKT0_PKT1_PKS1_21rocsparse_index_base_S1_PS1_PS2_SA_.kd
    .uniform_work_group_size: 1
    .uses_dynamic_stack: false
    .vgpr_count:     19
    .vgpr_spill_count: 0
    .wavefront_size: 64
  - .agpr_count:     0
    .args:
      - .offset:         0
        .size:           4
        .value_kind:     by_value
      - .address_space:  global
        .offset:         8
        .size:           8
        .value_kind:     global_buffer
      - .address_space:  global
        .offset:         16
        .size:           8
        .value_kind:     global_buffer
      - .address_space:  global
        .offset:         24
        .size:           8
        .value_kind:     global_buffer
      - .offset:         32
        .size:           4
        .value_kind:     by_value
      - .offset:         36
        .size:           4
        .value_kind:     by_value
      - .address_space:  global
        .offset:         40
        .size:           8
        .value_kind:     global_buffer
      - .address_space:  global
        .offset:         48
        .size:           8
        .value_kind:     global_buffer
      - .offset:         56
        .size:           4
        .value_kind:     by_value
    .group_segment_fixed_size: 0
    .kernarg_segment_align: 8
    .kernarg_segment_size: 60
    .language:       OpenCL C
    .language_version:
      - 2
      - 0
    .max_flat_workgroup_size: 512
    .name:           _ZN9rocsparseL14csr2ell_kernelILj512EdliEEvT2_PKT0_PKT1_PKS1_21rocsparse_index_base_S1_PS1_PS2_SA_
    .private_segment_fixed_size: 0
    .sgpr_count:     24
    .sgpr_spill_count: 0
    .symbol:         _ZN9rocsparseL14csr2ell_kernelILj512EdliEEvT2_PKT0_PKT1_PKS1_21rocsparse_index_base_S1_PS1_PS2_SA_.kd
    .uniform_work_group_size: 1
    .uses_dynamic_stack: false
    .vgpr_count:     24
    .vgpr_spill_count: 0
    .wavefront_size: 64
  - .agpr_count:     0
    .args:
      - .offset:         0
        .size:           8
        .value_kind:     by_value
      - .address_space:  global
        .offset:         8
        .size:           8
        .value_kind:     global_buffer
      - .address_space:  global
        .offset:         16
        .size:           8
        .value_kind:     global_buffer
      - .address_space:  global
        .offset:         24
        .size:           8
        .value_kind:     global_buffer
      - .offset:         32
        .size:           4
        .value_kind:     by_value
      - .offset:         40
        .size:           8
        .value_kind:     by_value
      - .address_space:  global
        .offset:         48
        .size:           8
        .value_kind:     global_buffer
      - .address_space:  global
        .offset:         56
        .size:           8
        .value_kind:     global_buffer
      - .offset:         64
        .size:           4
        .value_kind:     by_value
    .group_segment_fixed_size: 0
    .kernarg_segment_align: 8
    .kernarg_segment_size: 68
    .language:       OpenCL C
    .language_version:
      - 2
      - 0
    .max_flat_workgroup_size: 512
    .name:           _ZN9rocsparseL14csr2ell_kernelILj512EdilEEvT2_PKT0_PKT1_PKS1_21rocsparse_index_base_S1_PS1_PS2_SA_
    .private_segment_fixed_size: 0
    .sgpr_count:     27
    .sgpr_spill_count: 0
    .symbol:         _ZN9rocsparseL14csr2ell_kernelILj512EdilEEvT2_PKT0_PKT1_PKS1_21rocsparse_index_base_S1_PS1_PS2_SA_.kd
    .uniform_work_group_size: 1
    .uses_dynamic_stack: false
    .vgpr_count:     22
    .vgpr_spill_count: 0
    .wavefront_size: 64
  - .agpr_count:     0
    .args:
      - .offset:         0
        .size:           8
        .value_kind:     by_value
      - .address_space:  global
        .offset:         8
        .size:           8
        .value_kind:     global_buffer
      - .address_space:  global
        .offset:         16
        .size:           8
        .value_kind:     global_buffer
      - .address_space:  global
        .offset:         24
        .size:           8
        .value_kind:     global_buffer
      - .offset:         32
        .size:           4
        .value_kind:     by_value
      - .offset:         40
        .size:           8
        .value_kind:     by_value
      - .address_space:  global
        .offset:         48
        .size:           8
        .value_kind:     global_buffer
      - .address_space:  global
        .offset:         56
        .size:           8
        .value_kind:     global_buffer
      - .offset:         64
        .size:           4
        .value_kind:     by_value
    .group_segment_fixed_size: 0
    .kernarg_segment_align: 8
    .kernarg_segment_size: 68
    .language:       OpenCL C
    .language_version:
      - 2
      - 0
    .max_flat_workgroup_size: 512
    .name:           _ZN9rocsparseL14csr2ell_kernelILj512EdllEEvT2_PKT0_PKT1_PKS1_21rocsparse_index_base_S1_PS1_PS2_SA_
    .private_segment_fixed_size: 0
    .sgpr_count:     27
    .sgpr_spill_count: 0
    .symbol:         _ZN9rocsparseL14csr2ell_kernelILj512EdllEEvT2_PKT0_PKT1_PKS1_21rocsparse_index_base_S1_PS1_PS2_SA_.kd
    .uniform_work_group_size: 1
    .uses_dynamic_stack: false
    .vgpr_count:     30
    .vgpr_spill_count: 0
    .wavefront_size: 64
  - .agpr_count:     0
    .args:
      - .offset:         0
        .size:           4
        .value_kind:     by_value
      - .address_space:  global
        .offset:         8
        .size:           8
        .value_kind:     global_buffer
      - .address_space:  global
        .offset:         16
        .size:           8
        .value_kind:     global_buffer
      - .address_space:  global
        .offset:         24
        .size:           8
        .value_kind:     global_buffer
      - .offset:         32
        .size:           4
        .value_kind:     by_value
      - .offset:         36
        .size:           4
        .value_kind:     by_value
      - .address_space:  global
        .offset:         40
        .size:           8
        .value_kind:     global_buffer
      - .address_space:  global
        .offset:         48
        .size:           8
        .value_kind:     global_buffer
      - .offset:         56
        .size:           4
        .value_kind:     by_value
    .group_segment_fixed_size: 0
    .kernarg_segment_align: 8
    .kernarg_segment_size: 60
    .language:       OpenCL C
    .language_version:
      - 2
      - 0
    .max_flat_workgroup_size: 512
    .name:           _ZN9rocsparseL14csr2ell_kernelILj512E21rocsparse_complex_numIfEiiEEvT2_PKT0_PKT1_PKS3_21rocsparse_index_base_S3_PS3_PS4_SC_
    .private_segment_fixed_size: 0
    .sgpr_count:     22
    .sgpr_spill_count: 0
    .symbol:         _ZN9rocsparseL14csr2ell_kernelILj512E21rocsparse_complex_numIfEiiEEvT2_PKT0_PKT1_PKS3_21rocsparse_index_base_S3_PS3_PS4_SC_.kd
    .uniform_work_group_size: 1
    .uses_dynamic_stack: false
    .vgpr_count:     22
    .vgpr_spill_count: 0
    .wavefront_size: 64
  - .agpr_count:     0
    .args:
      - .offset:         0
        .size:           4
        .value_kind:     by_value
      - .address_space:  global
        .offset:         8
        .size:           8
        .value_kind:     global_buffer
      - .address_space:  global
        .offset:         16
        .size:           8
        .value_kind:     global_buffer
      - .address_space:  global
        .offset:         24
        .size:           8
        .value_kind:     global_buffer
      - .offset:         32
        .size:           4
        .value_kind:     by_value
      - .offset:         36
        .size:           4
        .value_kind:     by_value
      - .address_space:  global
        .offset:         40
        .size:           8
        .value_kind:     global_buffer
      - .address_space:  global
        .offset:         48
        .size:           8
        .value_kind:     global_buffer
      - .offset:         56
        .size:           4
        .value_kind:     by_value
    .group_segment_fixed_size: 0
    .kernarg_segment_align: 8
    .kernarg_segment_size: 60
    .language:       OpenCL C
    .language_version:
      - 2
      - 0
    .max_flat_workgroup_size: 512
    .name:           _ZN9rocsparseL14csr2ell_kernelILj512E21rocsparse_complex_numIfEliEEvT2_PKT0_PKT1_PKS3_21rocsparse_index_base_S3_PS3_PS4_SC_
    .private_segment_fixed_size: 0
    .sgpr_count:     24
    .sgpr_spill_count: 0
    .symbol:         _ZN9rocsparseL14csr2ell_kernelILj512E21rocsparse_complex_numIfEliEEvT2_PKT0_PKT1_PKS3_21rocsparse_index_base_S3_PS3_PS4_SC_.kd
    .uniform_work_group_size: 1
    .uses_dynamic_stack: false
    .vgpr_count:     24
    .vgpr_spill_count: 0
    .wavefront_size: 64
  - .agpr_count:     0
    .args:
      - .offset:         0
        .size:           8
        .value_kind:     by_value
      - .address_space:  global
        .offset:         8
        .size:           8
        .value_kind:     global_buffer
      - .address_space:  global
        .offset:         16
        .size:           8
        .value_kind:     global_buffer
      - .address_space:  global
        .offset:         24
        .size:           8
        .value_kind:     global_buffer
      - .offset:         32
        .size:           4
        .value_kind:     by_value
      - .offset:         40
        .size:           8
        .value_kind:     by_value
      - .address_space:  global
        .offset:         48
        .size:           8
        .value_kind:     global_buffer
      - .address_space:  global
        .offset:         56
        .size:           8
        .value_kind:     global_buffer
      - .offset:         64
        .size:           4
        .value_kind:     by_value
    .group_segment_fixed_size: 0
    .kernarg_segment_align: 8
    .kernarg_segment_size: 68
    .language:       OpenCL C
    .language_version:
      - 2
      - 0
    .max_flat_workgroup_size: 512
    .name:           _ZN9rocsparseL14csr2ell_kernelILj512E21rocsparse_complex_numIfEilEEvT2_PKT0_PKT1_PKS3_21rocsparse_index_base_S3_PS3_PS4_SC_
    .private_segment_fixed_size: 0
    .sgpr_count:     27
    .sgpr_spill_count: 0
    .symbol:         _ZN9rocsparseL14csr2ell_kernelILj512E21rocsparse_complex_numIfEilEEvT2_PKT0_PKT1_PKS3_21rocsparse_index_base_S3_PS3_PS4_SC_.kd
    .uniform_work_group_size: 1
    .uses_dynamic_stack: false
    .vgpr_count:     20
    .vgpr_spill_count: 0
    .wavefront_size: 64
  - .agpr_count:     0
    .args:
      - .offset:         0
        .size:           8
        .value_kind:     by_value
      - .address_space:  global
        .offset:         8
        .size:           8
        .value_kind:     global_buffer
      - .address_space:  global
        .offset:         16
        .size:           8
        .value_kind:     global_buffer
      - .address_space:  global
        .offset:         24
        .size:           8
        .value_kind:     global_buffer
      - .offset:         32
        .size:           4
        .value_kind:     by_value
      - .offset:         40
        .size:           8
        .value_kind:     by_value
      - .address_space:  global
        .offset:         48
        .size:           8
        .value_kind:     global_buffer
      - .address_space:  global
        .offset:         56
        .size:           8
        .value_kind:     global_buffer
      - .offset:         64
        .size:           4
        .value_kind:     by_value
    .group_segment_fixed_size: 0
    .kernarg_segment_align: 8
    .kernarg_segment_size: 68
    .language:       OpenCL C
    .language_version:
      - 2
      - 0
    .max_flat_workgroup_size: 512
    .name:           _ZN9rocsparseL14csr2ell_kernelILj512E21rocsparse_complex_numIfEllEEvT2_PKT0_PKT1_PKS3_21rocsparse_index_base_S3_PS3_PS4_SC_
    .private_segment_fixed_size: 0
    .sgpr_count:     27
    .sgpr_spill_count: 0
    .symbol:         _ZN9rocsparseL14csr2ell_kernelILj512E21rocsparse_complex_numIfEllEEvT2_PKT0_PKT1_PKS3_21rocsparse_index_base_S3_PS3_PS4_SC_.kd
    .uniform_work_group_size: 1
    .uses_dynamic_stack: false
    .vgpr_count:     26
    .vgpr_spill_count: 0
    .wavefront_size: 64
  - .agpr_count:     0
    .args:
      - .offset:         0
        .size:           4
        .value_kind:     by_value
      - .address_space:  global
        .offset:         8
        .size:           8
        .value_kind:     global_buffer
      - .address_space:  global
        .offset:         16
        .size:           8
        .value_kind:     global_buffer
      - .address_space:  global
        .offset:         24
        .size:           8
        .value_kind:     global_buffer
      - .offset:         32
        .size:           4
        .value_kind:     by_value
      - .offset:         36
        .size:           4
        .value_kind:     by_value
      - .address_space:  global
        .offset:         40
        .size:           8
        .value_kind:     global_buffer
      - .address_space:  global
        .offset:         48
        .size:           8
        .value_kind:     global_buffer
      - .offset:         56
        .size:           4
        .value_kind:     by_value
    .group_segment_fixed_size: 0
    .kernarg_segment_align: 8
    .kernarg_segment_size: 60
    .language:       OpenCL C
    .language_version:
      - 2
      - 0
    .max_flat_workgroup_size: 512
    .name:           _ZN9rocsparseL14csr2ell_kernelILj512E21rocsparse_complex_numIdEiiEEvT2_PKT0_PKT1_PKS3_21rocsparse_index_base_S3_PS3_PS4_SC_
    .private_segment_fixed_size: 0
    .sgpr_count:     22
    .sgpr_spill_count: 0
    .symbol:         _ZN9rocsparseL14csr2ell_kernelILj512E21rocsparse_complex_numIdEiiEEvT2_PKT0_PKT1_PKS3_21rocsparse_index_base_S3_PS3_PS4_SC_.kd
    .uniform_work_group_size: 1
    .uses_dynamic_stack: false
    .vgpr_count:     18
    .vgpr_spill_count: 0
    .wavefront_size: 64
  - .agpr_count:     0
    .args:
      - .offset:         0
        .size:           4
        .value_kind:     by_value
      - .address_space:  global
        .offset:         8
        .size:           8
        .value_kind:     global_buffer
      - .address_space:  global
        .offset:         16
        .size:           8
        .value_kind:     global_buffer
      - .address_space:  global
        .offset:         24
        .size:           8
        .value_kind:     global_buffer
      - .offset:         32
        .size:           4
        .value_kind:     by_value
      - .offset:         36
        .size:           4
        .value_kind:     by_value
      - .address_space:  global
        .offset:         40
        .size:           8
        .value_kind:     global_buffer
      - .address_space:  global
        .offset:         48
        .size:           8
        .value_kind:     global_buffer
      - .offset:         56
        .size:           4
        .value_kind:     by_value
    .group_segment_fixed_size: 0
    .kernarg_segment_align: 8
    .kernarg_segment_size: 60
    .language:       OpenCL C
    .language_version:
      - 2
      - 0
    .max_flat_workgroup_size: 512
    .name:           _ZN9rocsparseL14csr2ell_kernelILj512E21rocsparse_complex_numIdEliEEvT2_PKT0_PKT1_PKS3_21rocsparse_index_base_S3_PS3_PS4_SC_
    .private_segment_fixed_size: 0
    .sgpr_count:     24
    .sgpr_spill_count: 0
    .symbol:         _ZN9rocsparseL14csr2ell_kernelILj512E21rocsparse_complex_numIdEliEEvT2_PKT0_PKT1_PKS3_21rocsparse_index_base_S3_PS3_PS4_SC_.kd
    .uniform_work_group_size: 1
    .uses_dynamic_stack: false
    .vgpr_count:     24
    .vgpr_spill_count: 0
    .wavefront_size: 64
  - .agpr_count:     0
    .args:
      - .offset:         0
        .size:           8
        .value_kind:     by_value
      - .address_space:  global
        .offset:         8
        .size:           8
        .value_kind:     global_buffer
      - .address_space:  global
        .offset:         16
        .size:           8
        .value_kind:     global_buffer
      - .address_space:  global
        .offset:         24
        .size:           8
        .value_kind:     global_buffer
      - .offset:         32
        .size:           4
        .value_kind:     by_value
      - .offset:         40
        .size:           8
        .value_kind:     by_value
      - .address_space:  global
        .offset:         48
        .size:           8
        .value_kind:     global_buffer
      - .address_space:  global
        .offset:         56
        .size:           8
        .value_kind:     global_buffer
      - .offset:         64
        .size:           4
        .value_kind:     by_value
    .group_segment_fixed_size: 0
    .kernarg_segment_align: 8
    .kernarg_segment_size: 68
    .language:       OpenCL C
    .language_version:
      - 2
      - 0
    .max_flat_workgroup_size: 512
    .name:           _ZN9rocsparseL14csr2ell_kernelILj512E21rocsparse_complex_numIdEilEEvT2_PKT0_PKT1_PKS3_21rocsparse_index_base_S3_PS3_PS4_SC_
    .private_segment_fixed_size: 0
    .sgpr_count:     27
    .sgpr_spill_count: 0
    .symbol:         _ZN9rocsparseL14csr2ell_kernelILj512E21rocsparse_complex_numIdEilEEvT2_PKT0_PKT1_PKS3_21rocsparse_index_base_S3_PS3_PS4_SC_.kd
    .uniform_work_group_size: 1
    .uses_dynamic_stack: false
    .vgpr_count:     21
    .vgpr_spill_count: 0
    .wavefront_size: 64
  - .agpr_count:     0
    .args:
      - .offset:         0
        .size:           8
        .value_kind:     by_value
      - .address_space:  global
        .offset:         8
        .size:           8
        .value_kind:     global_buffer
      - .address_space:  global
        .offset:         16
        .size:           8
        .value_kind:     global_buffer
      - .address_space:  global
        .offset:         24
        .size:           8
        .value_kind:     global_buffer
      - .offset:         32
        .size:           4
        .value_kind:     by_value
      - .offset:         40
        .size:           8
        .value_kind:     by_value
      - .address_space:  global
        .offset:         48
        .size:           8
        .value_kind:     global_buffer
      - .address_space:  global
        .offset:         56
        .size:           8
        .value_kind:     global_buffer
      - .offset:         64
        .size:           4
        .value_kind:     by_value
    .group_segment_fixed_size: 0
    .kernarg_segment_align: 8
    .kernarg_segment_size: 68
    .language:       OpenCL C
    .language_version:
      - 2
      - 0
    .max_flat_workgroup_size: 512
    .name:           _ZN9rocsparseL14csr2ell_kernelILj512E21rocsparse_complex_numIdEllEEvT2_PKT0_PKT1_PKS3_21rocsparse_index_base_S3_PS3_PS4_SC_
    .private_segment_fixed_size: 0
    .sgpr_count:     27
    .sgpr_spill_count: 0
    .symbol:         _ZN9rocsparseL14csr2ell_kernelILj512E21rocsparse_complex_numIdEllEEvT2_PKT0_PKT1_PKS3_21rocsparse_index_base_S3_PS3_PS4_SC_.kd
    .uniform_work_group_size: 1
    .uses_dynamic_stack: false
    .vgpr_count:     30
    .vgpr_spill_count: 0
    .wavefront_size: 64
amdhsa.target:   amdgcn-amd-amdhsa--gfx90a
amdhsa.version:
  - 1
  - 2
...

	.end_amdgpu_metadata
